;; amdgpu-corpus repo=ROCm/rocFFT kind=compiled arch=gfx1030 opt=O3
	.text
	.amdgcn_target "amdgcn-amd-amdhsa--gfx1030"
	.amdhsa_code_object_version 6
	.protected	fft_rtc_back_len4000_factors_10_10_10_4_wgs_200_tpt_200_halfLds_sp_op_CI_CI_unitstride_sbrr_R2C_dirReg ; -- Begin function fft_rtc_back_len4000_factors_10_10_10_4_wgs_200_tpt_200_halfLds_sp_op_CI_CI_unitstride_sbrr_R2C_dirReg
	.globl	fft_rtc_back_len4000_factors_10_10_10_4_wgs_200_tpt_200_halfLds_sp_op_CI_CI_unitstride_sbrr_R2C_dirReg
	.p2align	8
	.type	fft_rtc_back_len4000_factors_10_10_10_4_wgs_200_tpt_200_halfLds_sp_op_CI_CI_unitstride_sbrr_R2C_dirReg,@function
fft_rtc_back_len4000_factors_10_10_10_4_wgs_200_tpt_200_halfLds_sp_op_CI_CI_unitstride_sbrr_R2C_dirReg: ; @fft_rtc_back_len4000_factors_10_10_10_4_wgs_200_tpt_200_halfLds_sp_op_CI_CI_unitstride_sbrr_R2C_dirReg
; %bb.0:
	s_clause 0x2
	s_load_dwordx4 s[12:15], s[4:5], 0x0
	s_load_dwordx4 s[8:11], s[4:5], 0x58
	;; [unrolled: 1-line block ×3, first 2 shown]
	v_mul_u32_u24_e32 v1, 0x148, v0
	v_mov_b32_e32 v3, 0
	v_add_nc_u32_sdwa v5, s6, v1 dst_sel:DWORD dst_unused:UNUSED_PAD src0_sel:DWORD src1_sel:WORD_1
	v_mov_b32_e32 v1, 0
	v_mov_b32_e32 v6, v3
	v_mov_b32_e32 v2, 0
	s_waitcnt lgkmcnt(0)
	v_cmp_lt_u64_e64 s0, s[14:15], 2
	s_and_b32 vcc_lo, exec_lo, s0
	s_cbranch_vccnz .LBB0_8
; %bb.1:
	s_load_dwordx2 s[0:1], s[4:5], 0x10
	v_mov_b32_e32 v1, 0
	v_mov_b32_e32 v2, 0
	s_add_u32 s2, s18, 8
	s_addc_u32 s3, s19, 0
	s_add_u32 s6, s16, 8
	s_addc_u32 s7, s17, 0
	v_mov_b32_e32 v37, v2
	v_mov_b32_e32 v36, v1
	s_mov_b64 s[22:23], 1
	s_waitcnt lgkmcnt(0)
	s_add_u32 s20, s0, 8
	s_addc_u32 s21, s1, 0
.LBB0_2:                                ; =>This Inner Loop Header: Depth=1
	s_load_dwordx2 s[24:25], s[20:21], 0x0
                                        ; implicit-def: $vgpr42_vgpr43
	s_mov_b32 s0, exec_lo
	s_waitcnt lgkmcnt(0)
	v_or_b32_e32 v4, s25, v6
	v_cmpx_ne_u64_e32 0, v[3:4]
	s_xor_b32 s1, exec_lo, s0
	s_cbranch_execz .LBB0_4
; %bb.3:                                ;   in Loop: Header=BB0_2 Depth=1
	v_cvt_f32_u32_e32 v4, s24
	v_cvt_f32_u32_e32 v7, s25
	s_sub_u32 s0, 0, s24
	s_subb_u32 s26, 0, s25
	v_fmac_f32_e32 v4, 0x4f800000, v7
	v_rcp_f32_e32 v4, v4
	v_mul_f32_e32 v4, 0x5f7ffffc, v4
	v_mul_f32_e32 v7, 0x2f800000, v4
	v_trunc_f32_e32 v7, v7
	v_fmac_f32_e32 v4, 0xcf800000, v7
	v_cvt_u32_f32_e32 v7, v7
	v_cvt_u32_f32_e32 v4, v4
	v_mul_lo_u32 v8, s0, v7
	v_mul_hi_u32 v9, s0, v4
	v_mul_lo_u32 v10, s26, v4
	v_add_nc_u32_e32 v8, v9, v8
	v_mul_lo_u32 v9, s0, v4
	v_add_nc_u32_e32 v8, v8, v10
	v_mul_hi_u32 v10, v4, v9
	v_mul_lo_u32 v11, v4, v8
	v_mul_hi_u32 v12, v4, v8
	v_mul_hi_u32 v13, v7, v9
	v_mul_lo_u32 v9, v7, v9
	v_mul_hi_u32 v14, v7, v8
	v_mul_lo_u32 v8, v7, v8
	v_add_co_u32 v10, vcc_lo, v10, v11
	v_add_co_ci_u32_e32 v11, vcc_lo, 0, v12, vcc_lo
	v_add_co_u32 v9, vcc_lo, v10, v9
	v_add_co_ci_u32_e32 v9, vcc_lo, v11, v13, vcc_lo
	v_add_co_ci_u32_e32 v10, vcc_lo, 0, v14, vcc_lo
	v_add_co_u32 v8, vcc_lo, v9, v8
	v_add_co_ci_u32_e32 v9, vcc_lo, 0, v10, vcc_lo
	v_add_co_u32 v4, vcc_lo, v4, v8
	v_add_co_ci_u32_e32 v7, vcc_lo, v7, v9, vcc_lo
	v_mul_hi_u32 v8, s0, v4
	v_mul_lo_u32 v10, s26, v4
	v_mul_lo_u32 v9, s0, v7
	v_add_nc_u32_e32 v8, v8, v9
	v_mul_lo_u32 v9, s0, v4
	v_add_nc_u32_e32 v8, v8, v10
	v_mul_hi_u32 v10, v4, v9
	v_mul_lo_u32 v11, v4, v8
	v_mul_hi_u32 v12, v4, v8
	v_mul_hi_u32 v13, v7, v9
	v_mul_lo_u32 v9, v7, v9
	v_mul_hi_u32 v14, v7, v8
	v_mul_lo_u32 v8, v7, v8
	v_add_co_u32 v10, vcc_lo, v10, v11
	v_add_co_ci_u32_e32 v11, vcc_lo, 0, v12, vcc_lo
	v_add_co_u32 v9, vcc_lo, v10, v9
	v_add_co_ci_u32_e32 v9, vcc_lo, v11, v13, vcc_lo
	v_add_co_ci_u32_e32 v10, vcc_lo, 0, v14, vcc_lo
	v_add_co_u32 v8, vcc_lo, v9, v8
	v_add_co_ci_u32_e32 v9, vcc_lo, 0, v10, vcc_lo
	v_add_co_u32 v4, vcc_lo, v4, v8
	v_add_co_ci_u32_e32 v11, vcc_lo, v7, v9, vcc_lo
	v_mul_hi_u32 v13, v5, v4
	v_mad_u64_u32 v[9:10], null, v6, v4, 0
	v_mad_u64_u32 v[7:8], null, v5, v11, 0
	;; [unrolled: 1-line block ×3, first 2 shown]
	v_add_co_u32 v4, vcc_lo, v13, v7
	v_add_co_ci_u32_e32 v7, vcc_lo, 0, v8, vcc_lo
	v_add_co_u32 v4, vcc_lo, v4, v9
	v_add_co_ci_u32_e32 v4, vcc_lo, v7, v10, vcc_lo
	v_add_co_ci_u32_e32 v7, vcc_lo, 0, v12, vcc_lo
	v_add_co_u32 v4, vcc_lo, v4, v11
	v_add_co_ci_u32_e32 v9, vcc_lo, 0, v7, vcc_lo
	v_mul_lo_u32 v10, s25, v4
	v_mad_u64_u32 v[7:8], null, s24, v4, 0
	v_mul_lo_u32 v11, s24, v9
	v_sub_co_u32 v7, vcc_lo, v5, v7
	v_add3_u32 v8, v8, v11, v10
	v_sub_nc_u32_e32 v10, v6, v8
	v_subrev_co_ci_u32_e64 v10, s0, s25, v10, vcc_lo
	v_add_co_u32 v11, s0, v4, 2
	v_add_co_ci_u32_e64 v12, s0, 0, v9, s0
	v_sub_co_u32 v13, s0, v7, s24
	v_sub_co_ci_u32_e32 v8, vcc_lo, v6, v8, vcc_lo
	v_subrev_co_ci_u32_e64 v10, s0, 0, v10, s0
	v_cmp_le_u32_e32 vcc_lo, s24, v13
	v_cmp_eq_u32_e64 s0, s25, v8
	v_cndmask_b32_e64 v13, 0, -1, vcc_lo
	v_cmp_le_u32_e32 vcc_lo, s25, v10
	v_cndmask_b32_e64 v14, 0, -1, vcc_lo
	v_cmp_le_u32_e32 vcc_lo, s24, v7
	;; [unrolled: 2-line block ×3, first 2 shown]
	v_cndmask_b32_e64 v15, 0, -1, vcc_lo
	v_cmp_eq_u32_e32 vcc_lo, s25, v10
	v_cndmask_b32_e64 v7, v15, v7, s0
	v_cndmask_b32_e32 v10, v14, v13, vcc_lo
	v_add_co_u32 v13, vcc_lo, v4, 1
	v_add_co_ci_u32_e32 v14, vcc_lo, 0, v9, vcc_lo
	v_cmp_ne_u32_e32 vcc_lo, 0, v10
	v_cndmask_b32_e32 v8, v14, v12, vcc_lo
	v_cndmask_b32_e32 v10, v13, v11, vcc_lo
	v_cmp_ne_u32_e32 vcc_lo, 0, v7
	v_cndmask_b32_e32 v43, v9, v8, vcc_lo
	v_cndmask_b32_e32 v42, v4, v10, vcc_lo
.LBB0_4:                                ;   in Loop: Header=BB0_2 Depth=1
	s_andn2_saveexec_b32 s0, s1
	s_cbranch_execz .LBB0_6
; %bb.5:                                ;   in Loop: Header=BB0_2 Depth=1
	v_cvt_f32_u32_e32 v4, s24
	s_sub_i32 s1, 0, s24
	v_mov_b32_e32 v43, v3
	v_rcp_iflag_f32_e32 v4, v4
	v_mul_f32_e32 v4, 0x4f7ffffe, v4
	v_cvt_u32_f32_e32 v4, v4
	v_mul_lo_u32 v7, s1, v4
	v_mul_hi_u32 v7, v4, v7
	v_add_nc_u32_e32 v4, v4, v7
	v_mul_hi_u32 v4, v5, v4
	v_mul_lo_u32 v7, v4, s24
	v_add_nc_u32_e32 v8, 1, v4
	v_sub_nc_u32_e32 v7, v5, v7
	v_subrev_nc_u32_e32 v9, s24, v7
	v_cmp_le_u32_e32 vcc_lo, s24, v7
	v_cndmask_b32_e32 v7, v7, v9, vcc_lo
	v_cndmask_b32_e32 v4, v4, v8, vcc_lo
	v_cmp_le_u32_e32 vcc_lo, s24, v7
	v_add_nc_u32_e32 v8, 1, v4
	v_cndmask_b32_e32 v42, v4, v8, vcc_lo
.LBB0_6:                                ;   in Loop: Header=BB0_2 Depth=1
	s_or_b32 exec_lo, exec_lo, s0
	v_mul_lo_u32 v4, v43, s24
	v_mul_lo_u32 v9, v42, s25
	s_load_dwordx2 s[0:1], s[6:7], 0x0
	v_mad_u64_u32 v[7:8], null, v42, s24, 0
	s_load_dwordx2 s[24:25], s[2:3], 0x0
	s_add_u32 s22, s22, 1
	s_addc_u32 s23, s23, 0
	s_add_u32 s2, s2, 8
	s_addc_u32 s3, s3, 0
	s_add_u32 s6, s6, 8
	v_add3_u32 v4, v8, v9, v4
	v_sub_co_u32 v5, vcc_lo, v5, v7
	s_addc_u32 s7, s7, 0
	s_add_u32 s20, s20, 8
	v_sub_co_ci_u32_e32 v4, vcc_lo, v6, v4, vcc_lo
	s_addc_u32 s21, s21, 0
	s_waitcnt lgkmcnt(0)
	v_mul_lo_u32 v6, s0, v4
	v_mul_lo_u32 v7, s1, v5
	v_mad_u64_u32 v[1:2], null, s0, v5, v[1:2]
	v_mul_lo_u32 v4, s24, v4
	v_mul_lo_u32 v8, s25, v5
	v_mad_u64_u32 v[36:37], null, s24, v5, v[36:37]
	v_cmp_ge_u64_e64 s0, s[22:23], s[14:15]
	v_add3_u32 v2, v7, v2, v6
	v_add3_u32 v37, v8, v37, v4
	s_and_b32 vcc_lo, exec_lo, s0
	s_cbranch_vccnz .LBB0_9
; %bb.7:                                ;   in Loop: Header=BB0_2 Depth=1
	v_mov_b32_e32 v5, v42
	v_mov_b32_e32 v6, v43
	s_branch .LBB0_2
.LBB0_8:
	v_mov_b32_e32 v37, v2
	v_mov_b32_e32 v43, v6
	;; [unrolled: 1-line block ×4, first 2 shown]
.LBB0_9:
	s_load_dwordx2 s[0:1], s[4:5], 0x28
	v_mul_hi_u32 v3, 0x147ae15, v0
	s_lshl_b64 s[4:5], s[14:15], 3
                                        ; implicit-def: $vgpr38
                                        ; implicit-def: $vgpr40
                                        ; implicit-def: $vgpr46
                                        ; implicit-def: $vgpr44
                                        ; implicit-def: $vgpr45
	s_add_u32 s2, s18, s4
	s_addc_u32 s3, s19, s5
	s_waitcnt lgkmcnt(0)
	v_cmp_gt_u64_e32 vcc_lo, s[0:1], v[42:43]
	v_cmp_le_u64_e64 s0, s[0:1], v[42:43]
	s_and_saveexec_b32 s1, s0
	s_xor_b32 s0, exec_lo, s1
; %bb.10:
	v_mul_u32_u24_e32 v1, 0xc8, v3
                                        ; implicit-def: $vgpr3
	v_sub_nc_u32_e32 v38, v0, v1
                                        ; implicit-def: $vgpr0
                                        ; implicit-def: $vgpr1_vgpr2
	v_add_nc_u32_e32 v40, 0xc8, v38
	v_add_nc_u32_e32 v46, 0x190, v38
	;; [unrolled: 1-line block ×4, first 2 shown]
; %bb.11:
	s_andn2_saveexec_b32 s1, s0
	s_cbranch_execz .LBB0_13
; %bb.12:
	s_add_u32 s4, s16, s4
	s_addc_u32 s5, s17, s5
	v_lshlrev_b64 v[1:2], 3, v[1:2]
	s_load_dwordx2 s[4:5], s[4:5], 0x0
	s_waitcnt lgkmcnt(0)
	v_mul_lo_u32 v6, s5, v42
	v_mul_lo_u32 v7, s4, v43
	v_mad_u64_u32 v[4:5], null, s4, v42, 0
	v_add3_u32 v5, v5, v7, v6
	v_mul_u32_u24_e32 v6, 0xc8, v3
	v_lshlrev_b64 v[3:4], 3, v[4:5]
	v_sub_nc_u32_e32 v38, v0, v6
	v_lshlrev_b32_e32 v39, 3, v38
	v_add_co_u32 v0, s0, s8, v3
	v_add_co_ci_u32_e64 v3, s0, s9, v4, s0
	v_add_nc_u32_e32 v40, 0xc8, v38
	v_add_co_u32 v0, s0, v0, v1
	v_add_co_ci_u32_e64 v1, s0, v3, v2, s0
	v_add_nc_u32_e32 v46, 0x190, v38
	v_add_co_u32 v0, s0, v0, v39
	v_add_co_ci_u32_e64 v1, s0, 0, v1, s0
	v_add_nc_u32_e32 v39, 0, v39
	v_add_co_u32 v2, s0, 0x800, v0
	v_add_co_ci_u32_e64 v3, s0, 0, v1, s0
	v_add_co_u32 v4, s0, 0x1000, v0
	v_add_co_ci_u32_e64 v5, s0, 0, v1, s0
	;; [unrolled: 2-line block ×13, first 2 shown]
	s_clause 0xb
	global_load_dwordx2 v[18:19], v[0:1], off
	global_load_dwordx2 v[20:21], v[0:1], off offset:1600
	global_load_dwordx2 v[2:3], v[2:3], off offset:1152
	;; [unrolled: 1-line block ×11, first 2 shown]
	v_add_co_u32 v0, s0, 0x7000, v0
	v_add_co_ci_u32_e64 v1, s0, 0, v1, s0
	s_clause 0x7
	global_load_dwordx2 v[26:27], v[26:27], off offset:768
	global_load_dwordx2 v[47:48], v[28:29], off offset:320
	;; [unrolled: 1-line block ×8, first 2 shown]
	v_add_nc_u32_e32 v45, 0x258, v38
	v_add_nc_u32_e32 v44, 0x320, v38
	;; [unrolled: 1-line block ×11, first 2 shown]
	s_waitcnt vmcnt(18)
	ds_write2_b64 v39, v[18:19], v[20:21] offset1:200
	s_waitcnt vmcnt(16)
	ds_write2_b64 v41, v[2:3], v[4:5] offset0:16 offset1:216
	s_waitcnt vmcnt(14)
	ds_write2_b64 v51, v[22:23], v[6:7] offset0:32 offset1:232
	;; [unrolled: 2-line block ×3, first 2 shown]
	s_waitcnt vmcnt(10)
	ds_write2_b64 v53, v[12:13], v[24:25] offset1:200
	s_waitcnt vmcnt(8)
	ds_write2_b64 v54, v[14:15], v[16:17] offset0:16 offset1:216
	s_waitcnt vmcnt(6)
	ds_write2_b64 v55, v[26:27], v[47:48] offset0:32 offset1:232
	s_waitcnt vmcnt(4)
	ds_write2_b64 v56, v[28:29], v[30:31] offset0:48 offset1:248
	s_waitcnt vmcnt(2)
	ds_write2_b64 v57, v[32:33], v[34:35] offset1:200
	s_waitcnt vmcnt(0)
	ds_write2_b64 v58, v[49:50], v[0:1] offset0:16 offset1:216
.LBB0_13:
	s_or_b32 exec_lo, exec_lo, s1
	v_lshlrev_b32_e32 v39, 3, v38
	s_load_dwordx2 s[2:3], s[2:3], 0x0
	s_waitcnt lgkmcnt(0)
	s_barrier
	buffer_gl0_inv
	v_add_nc_u32_e32 v51, 0, v39
	v_cmp_gt_u32_e64 s0, 0x64, v38
	s_add_u32 s1, s12, 0x7cb0
	s_addc_u32 s4, s13, 0
	s_mov_b32 s5, exec_lo
	v_add_nc_u32_e32 v4, 0x1800, v51
	v_add_nc_u32_e32 v5, 0x3200, v51
	;; [unrolled: 1-line block ×4, first 2 shown]
	ds_read2_b64 v[0:3], v51 offset1:200
	ds_read2_b64 v[7:10], v4 offset0:32 offset1:232
	ds_read2_b64 v[11:14], v5 offset1:200
	ds_read2_b64 v[15:18], v6 offset0:32 offset1:232
	ds_read2_b64 v[19:22], v19 offset1:200
	v_add_nc_u32_e32 v23, 0xc00, v51
	v_add_nc_u32_e32 v31, 0x5600, v51
	ds_read2_b64 v[31:34], v31 offset0:48 offset1:248
	s_waitcnt lgkmcnt(4)
	v_add_f32_e32 v24, v0, v7
	s_waitcnt lgkmcnt(3)
	v_sub_f32_e32 v41, v7, v11
	s_waitcnt lgkmcnt(2)
	v_add_f32_e32 v35, v11, v15
	v_sub_f32_e32 v49, v11, v7
	v_add_f32_e32 v25, v1, v8
	v_sub_f32_e32 v6, v11, v15
	;; [unrolled: 2-line block ×3, first 2 shown]
	s_waitcnt lgkmcnt(1)
	v_sub_f32_e32 v47, v19, v15
	v_sub_f32_e32 v50, v15, v19
	v_add_f32_e32 v52, v12, v16
	v_sub_f32_e32 v53, v8, v12
	v_sub_f32_e32 v56, v12, v8
	v_add_f32_e32 v12, v25, v12
	v_add_f32_e32 v24, v3, v10
	;; [unrolled: 1-line block ×3, first 2 shown]
	v_add_nc_u32_e32 v11, 0x2400, v51
	v_sub_f32_e32 v5, v8, v20
	v_sub_f32_e32 v54, v20, v16
	v_add_f32_e32 v55, v8, v20
	v_sub_f32_e32 v57, v16, v20
	v_add_f32_e32 v8, v2, v9
	v_add_f32_e32 v16, v12, v16
	;; [unrolled: 1-line block ×3, first 2 shown]
	ds_read2_b64 v[23:26], v23 offset0:16 offset1:216
	v_add_nc_u32_e32 v12, 0x3e00, v51
	ds_read2_b64 v[27:30], v11 offset0:48 offset1:248
	v_add_f32_e32 v58, v13, v17
	v_sub_f32_e32 v59, v14, v18
	v_sub_f32_e32 v60, v9, v13
	v_add_f32_e32 v8, v8, v13
	v_sub_f32_e32 v61, v13, v9
	v_add_f32_e32 v63, v14, v18
	v_sub_f32_e32 v64, v13, v17
	v_sub_f32_e32 v65, v10, v14
	;; [unrolled: 1-line block ×3, first 2 shown]
	ds_read2_b64 v[11:14], v12 offset0:16 offset1:216
	v_add_f32_e32 v68, v9, v21
	v_sub_f32_e32 v69, v9, v21
	v_add_f32_e32 v9, v62, v18
	v_add_f32_e32 v48, v7, v19
	v_sub_f32_e32 v7, v7, v19
	v_add_f32_e32 v8, v8, v17
	v_sub_f32_e32 v67, v10, v22
	v_add_f32_e32 v75, v9, v22
	v_add_nc_u32_e32 v9, 0x7000, v51
	v_add_f32_e32 v70, v10, v22
	v_sub_f32_e32 v71, v21, v17
	v_sub_f32_e32 v72, v17, v21
	;; [unrolled: 1-line block ×4, first 2 shown]
	v_add_f32_e32 v10, v15, v19
	v_add_f32_e32 v19, v16, v20
	ds_read2_b64 v[15:18], v9 offset0:16 offset1:216
	v_add_f32_e32 v74, v8, v21
	s_waitcnt lgkmcnt(2)
	v_add_f32_e32 v20, v24, v28
	v_add_f32_e32 v21, v25, v29
	;; [unrolled: 1-line block ×4, first 2 shown]
	s_waitcnt lgkmcnt(1)
	v_sub_f32_e32 v76, v12, v32
	v_add_f32_e32 v9, v20, v12
	v_add_f32_e32 v20, v21, v13
	;; [unrolled: 1-line block ×5, first 2 shown]
	v_sub_f32_e32 v81, v28, v12
	v_sub_f32_e32 v82, v12, v28
	v_add_f32_e32 v9, v9, v32
	v_add_f32_e32 v12, v21, v34
	;; [unrolled: 1-line block ×3, first 2 shown]
	v_sub_f32_e32 v77, v27, v11
	v_sub_f32_e32 v78, v11, v27
	;; [unrolled: 1-line block ×3, first 2 shown]
	v_add_f32_e32 v83, v13, v33
	v_sub_f32_e32 v84, v14, v34
	v_sub_f32_e32 v85, v29, v13
	;; [unrolled: 1-line block ×3, first 2 shown]
	v_add_f32_e32 v87, v14, v34
	v_sub_f32_e32 v88, v13, v33
	v_sub_f32_e32 v89, v30, v14
	;; [unrolled: 1-line block ×3, first 2 shown]
	s_waitcnt lgkmcnt(0)
	v_sub_f32_e32 v91, v28, v16
	v_add_f32_e32 v92, v27, v15
	v_sub_f32_e32 v27, v27, v15
	v_add_f32_e32 v28, v28, v16
	v_sub_f32_e32 v93, v30, v18
	v_add_f32_e32 v30, v30, v18
	v_add_f32_e32 v8, v8, v31
	v_add_f32_e32 v11, v20, v33
	v_sub_f32_e32 v13, v15, v31
	v_sub_f32_e32 v20, v31, v15
	;; [unrolled: 1-line block ×8, first 2 shown]
	v_add_f32_e32 v16, v9, v16
	v_add_f32_e32 v96, v12, v18
	v_fma_f32 v18, -0.5, v79, v24
	v_add_f32_e32 v95, v11, v17
	v_fma_f32 v35, -0.5, v35, v0
	v_add_f32_e32 v9, v19, v16
	v_sub_f32_e32 v11, v19, v16
	v_fma_f32 v19, -0.5, v22, v23
	v_fmamk_f32 v12, v27, 0x3f737871, v18
	v_add_f32_e32 v22, v77, v13
	v_add_f32_e32 v77, v81, v14
	v_fma_f32 v52, -0.5, v52, v1
	v_fmamk_f32 v13, v91, 0xbf737871, v19
	v_fmac_f32_e32 v12, 0x3f167918, v80
	v_fmamk_f32 v16, v5, 0xbf737871, v35
	v_add_f32_e32 v94, v29, v17
	v_sub_f32_e32 v29, v29, v17
	v_fmac_f32_e32 v13, 0xbf167918, v76
	v_fmac_f32_e32 v12, 0x3e9e377a, v77
	v_add_f32_e32 v15, v8, v15
	v_add_f32_e32 v41, v41, v47
	v_fmamk_f32 v17, v7, 0x3f737871, v52
	v_fmac_f32_e32 v13, 0x3e9e377a, v22
	v_mul_f32_e32 v14, 0xbf167918, v12
	v_fmac_f32_e32 v16, 0xbf167918, v4
	v_add_f32_e32 v8, v10, v15
	v_sub_f32_e32 v10, v10, v15
	v_add_f32_e32 v47, v53, v54
	v_mul_f32_e32 v15, 0x3f167918, v13
	v_fmac_f32_e32 v14, 0x3f4f1bbd, v13
	v_fmac_f32_e32 v17, 0x3f167918, v6
	;; [unrolled: 1-line block ×3, first 2 shown]
	v_fma_f32 v24, -0.5, v28, v24
	v_fmac_f32_e32 v15, 0x3f4f1bbd, v12
	v_fma_f32 v23, -0.5, v92, v23
	v_fmac_f32_e32 v17, 0x3e9e377a, v47
	v_add_f32_e32 v12, v16, v14
	v_sub_f32_e32 v14, v16, v14
	v_fmamk_f32 v16, v80, 0xbf737871, v24
	v_add_f32_e32 v21, v82, v21
	v_add_f32_e32 v13, v17, v15
	v_sub_f32_e32 v15, v17, v15
	v_fmamk_f32 v17, v76, 0x3f737871, v23
	v_fmac_f32_e32 v16, 0x3f167918, v27
	v_fmac_f32_e32 v24, 0x3f737871, v80
	;; [unrolled: 1-line block ×3, first 2 shown]
	v_add_f32_e32 v20, v78, v20
	v_fmac_f32_e32 v17, 0xbf167918, v91
	v_fmac_f32_e32 v16, 0x3e9e377a, v21
	v_fma_f32 v48, -0.5, v48, v0
	v_fmac_f32_e32 v23, 0xbf737871, v76
	v_fmac_f32_e32 v24, 0xbf167918, v27
	;; [unrolled: 1-line block ×5, first 2 shown]
	v_add_f32_e32 v28, v49, v50
	v_fmac_f32_e32 v17, 0x3e9e377a, v20
	v_mul_f32_e32 v49, 0xbf737871, v16
	v_mul_f32_e32 v50, 0x3e9e377a, v16
	v_fma_f32 v53, -0.5, v55, v1
	v_fmamk_f32 v16, v4, 0x3f737871, v48
	v_fmac_f32_e32 v48, 0xbf737871, v4
	v_fmac_f32_e32 v23, 0x3f167918, v91
	;; [unrolled: 1-line block ×9, first 2 shown]
	v_fmamk_f32 v17, v6, 0xbf737871, v53
	v_fmac_f32_e32 v53, 0x3f737871, v6
	v_fmac_f32_e32 v48, 0x3f167918, v5
	;; [unrolled: 1-line block ×3, first 2 shown]
	v_mul_f32_e32 v20, 0xbf737871, v24
	v_fmac_f32_e32 v52, 0xbf167918, v6
	v_fmac_f32_e32 v19, 0x3e9e377a, v22
	v_mul_f32_e32 v4, 0xbf167918, v18
	v_fmac_f32_e32 v35, 0x3e9e377a, v41
	v_fma_f32 v41, -0.5, v58, v2
	v_add_f32_e32 v54, v56, v57
	v_fmac_f32_e32 v17, 0x3f167918, v7
	v_fmac_f32_e32 v53, 0xbf167918, v7
	;; [unrolled: 1-line block ×3, first 2 shown]
	v_mul_f32_e32 v21, 0xbe9e377a, v24
	v_fmac_f32_e32 v20, 0xbe9e377a, v23
	v_mul_f32_e32 v7, 0xbf4f1bbd, v18
	v_fmac_f32_e32 v52, 0x3e9e377a, v47
	v_fmac_f32_e32 v4, 0xbf4f1bbd, v19
	v_fmamk_f32 v47, v67, 0xbf737871, v41
	v_fmac_f32_e32 v41, 0x3f737871, v67
	v_fmac_f32_e32 v16, 0xbf167918, v5
	;; [unrolled: 1-line block ×4, first 2 shown]
	v_add_f32_e32 v5, v48, v20
	v_fmac_f32_e32 v7, 0x3f167918, v19
	v_sub_f32_e32 v18, v48, v20
	v_add_f32_e32 v20, v35, v4
	v_sub_f32_e32 v22, v35, v4
	v_fma_f32 v2, -0.5, v68, v2
	v_add_f32_e32 v4, v60, v71
	v_fmac_f32_e32 v47, 0xbf167918, v59
	v_fmac_f32_e32 v41, 0x3f167918, v59
	;; [unrolled: 1-line block ×3, first 2 shown]
	v_add_f32_e32 v6, v53, v21
	v_sub_f32_e32 v19, v53, v21
	v_add_f32_e32 v21, v52, v7
	v_sub_f32_e32 v23, v52, v7
	v_fmamk_f32 v7, v59, 0x3f737871, v2
	v_fmac_f32_e32 v2, 0xbf737871, v59
	v_fmac_f32_e32 v47, 0x3e9e377a, v4
	v_fmac_f32_e32 v41, 0x3e9e377a, v4
	v_fma_f32 v4, -0.5, v63, v3
	v_add_f32_e32 v0, v16, v49
	v_sub_f32_e32 v16, v16, v49
	v_add_f32_e32 v24, v61, v72
	v_fmac_f32_e32 v7, 0xbf167918, v67
	v_fmac_f32_e32 v2, 0x3f167918, v67
	v_fmamk_f32 v35, v69, 0x3f737871, v4
	v_fmac_f32_e32 v4, 0xbf737871, v69
	v_fma_f32 v49, -0.5, v83, v25
	v_fmac_f32_e32 v3, -0.5, v70
	v_add_f32_e32 v27, v65, v62
	v_fmac_f32_e32 v35, 0x3f167918, v64
	v_fmac_f32_e32 v4, 0xbf167918, v64
	;; [unrolled: 1-line block ×4, first 2 shown]
	v_fmamk_f32 v24, v93, 0xbf737871, v49
	v_fmac_f32_e32 v49, 0x3f737871, v93
	v_fmamk_f32 v48, v64, 0xbf737871, v3
	v_fmac_f32_e32 v3, 0x3f737871, v64
	v_fmac_f32_e32 v35, 0x3e9e377a, v27
	;; [unrolled: 1-line block ×3, first 2 shown]
	v_fma_f32 v27, -0.5, v94, v25
	v_add_f32_e32 v25, v85, v31
	v_fmac_f32_e32 v24, 0xbf167918, v84
	v_fmac_f32_e32 v49, 0x3f167918, v84
	v_add_f32_e32 v31, v86, v32
	v_fma_f32 v32, -0.5, v87, v26
	v_fmac_f32_e32 v26, -0.5, v30
	v_add_f32_e32 v28, v66, v73
	v_fmac_f32_e32 v48, 0x3f167918, v69
	v_fmac_f32_e32 v3, 0xbf167918, v69
	;; [unrolled: 1-line block ×4, first 2 shown]
	v_fmamk_f32 v25, v88, 0xbf737871, v26
	v_fmamk_f32 v30, v29, 0x3f737871, v32
	v_fmac_f32_e32 v48, 0x3e9e377a, v28
	v_fmac_f32_e32 v3, 0x3e9e377a, v28
	v_fmamk_f32 v28, v84, 0x3f737871, v27
	v_fmac_f32_e32 v27, 0xbf737871, v84
	v_add_f32_e32 v33, v89, v33
	v_add_f32_e32 v34, v90, v34
	v_fmac_f32_e32 v30, 0x3f167918, v88
	v_fmac_f32_e32 v25, 0x3f167918, v29
	;; [unrolled: 1-line block ×10, first 2 shown]
	v_add_f32_e32 v1, v17, v50
	v_sub_f32_e32 v17, v17, v50
	v_fmac_f32_e32 v26, 0xbf167918, v29
	v_fmac_f32_e32 v28, 0x3e9e377a, v31
	;; [unrolled: 1-line block ×3, first 2 shown]
	v_mul_f32_e32 v31, 0xbf167918, v30
	v_mul_f32_e32 v50, 0xbf737871, v25
	v_fmac_f32_e32 v32, 0x3e9e377a, v33
	v_fmac_f32_e32 v26, 0x3e9e377a, v34
	v_mul_f32_e32 v33, 0x3f167918, v24
	v_fmac_f32_e32 v31, 0x3f4f1bbd, v24
	v_fmac_f32_e32 v50, 0x3e9e377a, v28
	v_mul_f32_e32 v53, 0x3e9e377a, v25
	v_mul_f32_e32 v55, 0xbf167918, v32
	;; [unrolled: 1-line block ×4, first 2 shown]
	v_fmac_f32_e32 v33, 0x3f4f1bbd, v30
	v_add_f32_e32 v26, v47, v31
	v_add_f32_e32 v30, v7, v50
	v_mul_f32_e32 v56, 0xbf4f1bbd, v32
	v_sub_f32_e32 v32, v47, v31
	v_sub_f32_e32 v47, v7, v50
	v_and_b32_e32 v7, 0xff, v38
	v_fmac_f32_e32 v53, 0x3f737871, v28
	v_fmac_f32_e32 v55, 0xbf4f1bbd, v49
	;; [unrolled: 1-line block ×4, first 2 shown]
	v_mul_lo_u16 v7, 0xcd, v7
	v_add_f32_e32 v31, v48, v53
	v_sub_f32_e32 v48, v48, v53
	v_add_f32_e32 v49, v41, v55
	v_sub_f32_e32 v53, v41, v55
	v_mov_b32_e32 v41, 0xcccd
	v_fmac_f32_e32 v52, 0xbe9e377a, v27
	v_add_f32_e32 v27, v35, v33
	v_sub_f32_e32 v33, v35, v33
	v_add_f32_e32 v35, v3, v54
	v_add_f32_e32 v50, v4, v56
	v_sub_f32_e32 v3, v3, v54
	v_sub_f32_e32 v54, v4, v56
	v_mad_u32_u24 v4, 0x48, v38, v51
	v_lshrrev_b16 v62, 11, v7
	v_mul_u32_u24_sdwa v7, v40, v41 dst_sel:DWORD dst_unused:UNUSED_PAD src0_sel:WORD_0 src1_sel:DWORD
	s_barrier
	buffer_gl0_inv
	ds_write2_b64 v4, v[0:1], v[5:6] offset0:2 offset1:3
	v_mul_lo_u16 v1, v62, 10
	v_mul_i32_i24_e32 v0, 10, v40
	v_lshrrev_b32_e32 v61, 19, v7
	v_mov_b32_e32 v59, 9
	v_add_f32_e32 v34, v2, v52
	v_sub_nc_u16 v63, v38, v1
	v_sub_f32_e32 v2, v2, v52
	v_lshl_add_u32 v52, v0, 3, 0
	v_mul_lo_u16 v0, v61, 10
	v_add_f32_e32 v24, v74, v95
	v_mul_u32_u24_sdwa v1, v63, v59 dst_sel:DWORD dst_unused:UNUSED_PAD src0_sel:BYTE_0 src1_sel:DWORD
	v_add_f32_e32 v25, v75, v96
	v_sub_f32_e32 v28, v74, v95
	v_sub_nc_u16 v60, v40, v0
	v_sub_f32_e32 v29, v75, v96
	ds_write2_b64 v4, v[8:9], v[12:13] offset1:1
	ds_write2_b64 v4, v[20:21], v[10:11] offset0:4 offset1:5
	ds_write2_b64 v4, v[14:15], v[16:17] offset0:6 offset1:7
	;; [unrolled: 1-line block ×3, first 2 shown]
	ds_write2_b64 v52, v[24:25], v[26:27] offset1:1
	ds_write2_b64 v52, v[30:31], v[34:35] offset0:2 offset1:3
	v_lshlrev_b32_e32 v24, 3, v1
	v_mul_u32_u24_sdwa v0, v60, v59 dst_sel:DWORD dst_unused:UNUSED_PAD src0_sel:WORD_0 src1_sel:DWORD
	ds_write2_b64 v52, v[49:50], v[28:29] offset0:4 offset1:5
	ds_write2_b64 v52, v[32:33], v[47:48] offset0:6 offset1:7
	;; [unrolled: 1-line block ×3, first 2 shown]
	s_waitcnt lgkmcnt(0)
	s_barrier
	buffer_gl0_inv
	global_load_dwordx4 v[8:11], v24, s[12:13]
	v_lshlrev_b32_e32 v32, 3, v0
	s_clause 0x8
	global_load_dwordx2 v[47:48], v24, s[12:13] offset:64
	global_load_dwordx4 v[4:7], v32, s[12:13] offset:48
	global_load_dwordx4 v[0:3], v24, s[12:13] offset:48
	;; [unrolled: 1-line block ×6, first 2 shown]
	global_load_dwordx4 v[28:31], v32, s[12:13]
	global_load_dwordx2 v[49:50], v32, s[12:13] offset:64
	v_lshl_add_u32 v54, v46, 3, 0
	v_lshl_add_u32 v53, v44, 3, 0
	v_add_nc_u32_e32 v41, 0x6a00, v51
	ds_read_b64 v[76:77], v54
	ds_read_b64 v[78:79], v53
	ds_read2_b64 v[64:67], v41 offset0:8 offset1:208
	v_add_nc_u32_e32 v55, 0x5d00, v51
	v_add_nc_u32_e32 v56, 0x5000, v51
	;; [unrolled: 1-line block ×3, first 2 shown]
	v_mad_i32_i24 v58, 0xffffffb8, v40, v52
	ds_read2_b64 v[32:35], v55 offset0:24 offset1:224
	ds_read2_b64 v[68:71], v56 offset0:40 offset1:240
	ds_read2_b64 v[72:75], v57 offset0:24 offset1:224
	ds_read_b64 v[80:81], v51 offset:30400
	ds_read_b64 v[82:83], v58
	s_waitcnt vmcnt(8) lgkmcnt(5)
	v_mul_f32_e32 v86, v67, v48
	v_mul_f32_e32 v48, v66, v48
	s_waitcnt vmcnt(7)
	v_mul_f32_e32 v87, v65, v7
	v_mul_f32_e32 v84, v9, v77
	;; [unrolled: 1-line block ×5, first 2 shown]
	v_fmac_f32_e32 v86, v66, v47
	v_fmac_f32_e32 v84, v8, v76
	v_fma_f32 v76, v8, v77, -v9
	s_waitcnt lgkmcnt(4)
	v_mul_f32_e32 v77, v33, v5
	v_fmac_f32_e32 v85, v10, v78
	v_fma_f32 v11, v10, v79, -v11
	v_mul_f32_e32 v5, v32, v5
	s_waitcnt vmcnt(6)
	v_mul_f32_e32 v78, v35, v3
	v_mul_f32_e32 v3, v34, v3
	v_fma_f32 v79, v67, v47, -v48
	v_add_nc_u32_e32 v47, 0x3800, v51
	v_mul_f32_e32 v7, v64, v7
	v_fmac_f32_e32 v77, v32, v4
	v_fma_f32 v32, v33, v4, -v5
	v_fmac_f32_e32 v78, v34, v2
	v_fma_f32 v33, v35, v2, -v3
	s_waitcnt lgkmcnt(3)
	v_mul_f32_e32 v34, v71, v1
	v_mul_f32_e32 v5, v70, v1
	ds_read2_b64 v[1:4], v47 offset0:8 offset1:208
	v_add_nc_u32_e32 v35, 0x2b00, v51
	v_fmac_f32_e32 v87, v64, v6
	v_fma_f32 v88, v65, v6, -v7
	s_waitcnt vmcnt(5)
	v_mul_f32_e32 v89, v69, v23
	v_mul_f32_e32 v9, v68, v23
	v_fma_f32 v23, v71, v0, -v5
	ds_read2_b64 v[5:8], v35 offset0:24 offset1:224
	v_add_nc_u32_e32 v48, 0x1e00, v51
	v_fmac_f32_e32 v34, v70, v0
	v_fmac_f32_e32 v89, v68, v22
	v_fma_f32 v22, v69, v22, -v9
	s_waitcnt lgkmcnt(4)
	v_mul_f32_e32 v68, v73, v21
	v_mul_f32_e32 v0, v72, v21
	s_waitcnt vmcnt(4)
	v_mul_f32_e32 v21, v75, v19
	v_mul_f32_e32 v9, v74, v19
	ds_read2_b64 v[64:67], v48 offset0:40 offset1:240
	v_fmac_f32_e32 v68, v72, v20
	v_fma_f32 v19, v73, v20, -v0
	v_fmac_f32_e32 v21, v74, v18
	v_fma_f32 v18, v75, v18, -v9
	ds_read_b64 v[9:10], v51 offset:4800
	s_waitcnt lgkmcnt(3)
	v_mul_f32_e32 v20, v4, v17
	v_mul_f32_e32 v0, v3, v17
	s_waitcnt vmcnt(3)
	v_mul_f32_e32 v17, v2, v15
	v_mul_f32_e32 v15, v1, v15
	v_sub_f32_e32 v72, v11, v33
	v_fmac_f32_e32 v20, v3, v16
	v_fma_f32 v16, v4, v16, -v0
	s_waitcnt lgkmcnt(2)
	v_mul_f32_e32 v0, v5, v13
	v_mul_f32_e32 v69, v6, v13
	v_fmac_f32_e32 v17, v1, v14
	v_fma_f32 v15, v2, v14, -v15
	s_waitcnt vmcnt(2)
	v_mul_f32_e32 v3, v8, v27
	v_mul_f32_e32 v1, v7, v27
	v_fmac_f32_e32 v69, v5, v12
	s_waitcnt lgkmcnt(1)
	v_mul_f32_e32 v13, v25, v67
	v_mul_f32_e32 v2, v25, v66
	v_fma_f32 v25, v6, v12, -v0
	s_waitcnt vmcnt(1)
	v_mul_f32_e32 v0, v64, v31
	v_fmac_f32_e32 v3, v7, v26
	v_fma_f32 v4, v8, v26, -v1
	v_fmac_f32_e32 v13, v24, v66
	v_fma_f32 v7, v24, v67, -v2
	ds_read_b64 v[1:2], v51
	s_waitcnt lgkmcnt(1)
	v_mul_f32_e32 v26, v10, v29
	v_mul_f32_e32 v5, v9, v29
	v_fma_f32 v27, v65, v30, -v0
	v_add_f32_e32 v0, v16, v23
	v_mul_f32_e32 v24, v65, v31
	v_fmac_f32_e32 v26, v9, v28
	v_fma_f32 v28, v10, v28, -v5
	v_add_f32_e32 v8, v20, v34
	v_fma_f32 v9, -0.5, v0, v76
	v_sub_f32_e32 v10, v13, v86
	v_fmac_f32_e32 v24, v64, v30
	v_sub_f32_e32 v0, v7, v16
	v_sub_f32_e32 v12, v79, v23
	v_fma_f32 v14, -0.5, v8, v84
	v_sub_f32_e32 v8, v7, v79
	v_fmamk_f32 v30, v10, 0x3f737871, v9
	v_sub_f32_e32 v31, v20, v34
	s_waitcnt vmcnt(0)
	v_mul_f32_e32 v29, v81, v50
	v_mul_f32_e32 v5, v80, v50
	v_sub_f32_e32 v6, v13, v20
	v_sub_f32_e32 v50, v86, v34
	v_add_f32_e32 v12, v0, v12
	v_fmamk_f32 v0, v8, 0xbf737871, v14
	v_sub_f32_e32 v64, v16, v23
	v_fmac_f32_e32 v30, 0x3f167918, v31
	v_sub_f32_e32 v65, v85, v3
	v_sub_f32_e32 v66, v78, v21
	v_add_f32_e32 v50, v6, v50
	v_fmac_f32_e32 v0, 0xbf167918, v64
	v_fmac_f32_e32 v30, 0x3e9e377a, v12
	v_sub_f32_e32 v6, v11, v4
	v_sub_f32_e32 v67, v33, v18
	v_fmac_f32_e32 v29, v80, v49
	v_fma_f32 v70, v81, v49, -v5
	v_fmac_f32_e32 v0, 0x3e9e377a, v50
	v_mul_f32_e32 v71, 0xbf167918, v30
	v_add_f32_e32 v65, v65, v66
	v_add_f32_e32 v66, v6, v67
	v_mul_f32_e32 v30, 0x3f4f1bbd, v30
	v_mov_b32_e32 v6, 0x320
	v_mov_b32_e32 v49, 3
	s_waitcnt lgkmcnt(0)
	v_add_f32_e32 v5, v1, v85
	v_fmac_f32_e32 v71, 0x3f4f1bbd, v0
	v_fmac_f32_e32 v30, 0x3f167918, v0
	v_add_f32_e32 v0, v3, v21
	v_mul_u32_u24_sdwa v6, v62, v6 dst_sel:DWORD dst_unused:UNUSED_PAD src0_sel:WORD_0 src1_sel:DWORD
	v_lshlrev_b32_sdwa v62, v49, v63 dst_sel:DWORD dst_unused:UNUSED_PAD src0_sel:DWORD src1_sel:BYTE_0
	v_add_f32_e32 v5, v5, v3
	v_add_f32_e32 v74, v84, v13
	v_fma_f32 v67, -0.5, v0, v1
	v_add_f32_e32 v63, v2, v11
	v_add3_u32 v0, 0, v6, v62
	v_add_f32_e32 v6, v4, v18
	v_add_f32_e32 v5, v5, v21
	v_sub_f32_e32 v73, v4, v18
	v_add_f32_e32 v75, v76, v7
	v_sub_f32_e32 v81, v85, v78
	v_fma_f32 v80, -0.5, v6, v2
	v_add_f32_e32 v6, v74, v20
	v_add_f32_e32 v62, v5, v78
	;; [unrolled: 1-line block ×4, first 2 shown]
	v_sub_f32_e32 v90, v3, v21
	v_add_f32_e32 v6, v6, v34
	v_sub_f32_e32 v3, v3, v85
	v_add_f32_e32 v5, v5, v18
	;; [unrolled: 2-line block ×3, first 2 shown]
	v_add_f32_e32 v92, v6, v86
	v_sub_f32_e32 v6, v4, v11
	v_add_f32_e32 v11, v11, v33
	v_add_f32_e32 v74, v74, v23
	v_fmac_f32_e32 v9, 0xbf737871, v10
	v_fma_f32 v1, -0.5, v85, v1
	v_fmac_f32_e32 v14, 0x3f737871, v8
	v_fmac_f32_e32 v2, -0.5, v11
	v_add_f32_e32 v11, v6, v18
	v_sub_f32_e32 v18, v20, v13
	v_sub_f32_e32 v20, v34, v86
	v_add_f32_e32 v34, v7, v79
	v_add_f32_e32 v13, v13, v86
	v_sub_f32_e32 v7, v16, v7
	v_fmac_f32_e32 v9, 0xbf167918, v31
	v_fmamk_f32 v63, v72, 0xbf737871, v67
	v_fmac_f32_e32 v76, -0.5, v34
	v_fmac_f32_e32 v84, -0.5, v13
	v_sub_f32_e32 v13, v23, v79
	v_fmamk_f32 v75, v81, 0x3f737871, v80
	v_add_f32_e32 v91, v5, v33
	v_fmamk_f32 v16, v31, 0xbf737871, v76
	v_fmac_f32_e32 v76, 0x3f737871, v31
	v_fmamk_f32 v23, v64, 0x3f737871, v84
	v_add_f32_e32 v7, v7, v13
	v_fmac_f32_e32 v84, 0xbf737871, v64
	v_fmac_f32_e32 v16, 0x3f167918, v10
	;; [unrolled: 1-line block ×3, first 2 shown]
	v_add_f32_e32 v13, v18, v20
	v_fmac_f32_e32 v23, 0xbf167918, v8
	v_sub_f32_e32 v5, v21, v78
	v_fmac_f32_e32 v16, 0x3e9e377a, v7
	v_fmamk_f32 v21, v73, 0x3f737871, v1
	v_fmac_f32_e32 v1, 0xbf737871, v73
	v_fmamk_f32 v33, v90, 0xbf737871, v2
	v_fmac_f32_e32 v2, 0x3f737871, v90
	v_fmac_f32_e32 v84, 0x3f167918, v8
	;; [unrolled: 1-line block ×4, first 2 shown]
	v_mul_f32_e32 v18, 0xbf737871, v16
	v_mul_f32_e32 v16, 0x3e9e377a, v16
	v_fmac_f32_e32 v67, 0x3f737871, v72
	v_fmac_f32_e32 v80, 0xbf737871, v81
	;; [unrolled: 1-line block ×6, first 2 shown]
	v_add_f32_e32 v5, v3, v5
	v_fmac_f32_e32 v21, 0xbf167918, v72
	v_fmac_f32_e32 v1, 0x3f167918, v72
	;; [unrolled: 1-line block ×5, first 2 shown]
	v_mul_f32_e32 v20, 0xbf737871, v76
	v_mul_f32_e32 v34, 0xbe9e377a, v76
	v_fmac_f32_e32 v18, 0x3e9e377a, v23
	v_fmac_f32_e32 v16, 0x3f737871, v23
	;; [unrolled: 1-line block ×5, first 2 shown]
	v_mul_f32_e32 v23, 0xbf167918, v9
	v_mul_f32_e32 v31, 0xbf4f1bbd, v9
	v_add_f32_e32 v74, v74, v79
	v_fmac_f32_e32 v63, 0x3e9e377a, v65
	v_fmac_f32_e32 v75, 0x3e9e377a, v66
	;; [unrolled: 1-line block ×12, first 2 shown]
	v_add_f32_e32 v3, v62, v92
	v_add_f32_e32 v4, v91, v74
	;; [unrolled: 1-line block ×8, first 2 shown]
	v_sub_f32_e32 v11, v62, v92
	v_sub_f32_e32 v12, v91, v74
	v_add_f32_e32 v13, v67, v23
	v_add_f32_e32 v14, v80, v31
	s_barrier
	buffer_gl0_inv
	ds_write2_b64 v0, v[3:4], v[5:6] offset1:10
	ds_write2_b64 v0, v[7:8], v[9:10] offset0:20 offset1:30
	ds_write2_b64 v0, v[13:14], v[11:12] offset0:40 offset1:50
	v_add_f32_e32 v6, v17, v89
	v_sub_f32_e32 v10, v24, v17
	v_sub_f32_e32 v11, v87, v89
	v_add_f32_e32 v12, v24, v87
	v_sub_f32_e32 v4, v75, v30
	v_fma_f32 v30, -0.5, v6, v82
	v_sub_f32_e32 v9, v27, v88
	v_sub_f32_e32 v13, v15, v22
	v_add_f32_e32 v10, v10, v11
	v_fma_f32 v11, -0.5, v12, v82
	v_add_f32_e32 v12, v82, v24
	v_sub_f32_e32 v1, v1, v20
	v_fmamk_f32 v20, v9, 0xbf737871, v30
	v_sub_f32_e32 v8, v80, v31
	v_fmac_f32_e32 v30, 0x3f737871, v9
	v_fmamk_f32 v31, v13, 0x3f737871, v11
	v_fmac_f32_e32 v11, 0xbf737871, v13
	v_add_f32_e32 v12, v12, v17
	v_sub_f32_e32 v6, v33, v16
	v_fmac_f32_e32 v20, 0xbf167918, v13
	v_sub_f32_e32 v14, v17, v24
	v_sub_f32_e32 v16, v89, v87
	v_fmac_f32_e32 v30, 0x3f167918, v13
	v_fmac_f32_e32 v31, 0xbf167918, v9
	;; [unrolled: 1-line block ×3, first 2 shown]
	v_add_f32_e32 v9, v12, v89
	v_add_f32_e32 v13, v14, v16
	v_fmac_f32_e32 v20, 0x3e9e377a, v10
	v_fmac_f32_e32 v30, 0x3e9e377a, v10
	v_add_f32_e32 v10, v15, v22
	v_add_f32_e32 v16, v9, v87
	;; [unrolled: 1-line block ×3, first 2 shown]
	v_sub_f32_e32 v12, v24, v87
	v_sub_f32_e32 v7, v67, v23
	v_fma_f32 v33, -0.5, v10, v83
	v_sub_f32_e32 v10, v17, v89
	v_add_f32_e32 v9, v9, v15
	v_add_f32_e32 v17, v27, v88
	v_fmac_f32_e32 v31, 0x3e9e377a, v13
	v_fmac_f32_e32 v11, 0x3e9e377a, v13
	v_sub_f32_e32 v13, v27, v15
	v_sub_f32_e32 v14, v88, v22
	v_add_f32_e32 v9, v9, v22
	v_fmamk_f32 v23, v12, 0x3f737871, v33
	v_fmac_f32_e32 v33, 0xbf737871, v12
	v_fmac_f32_e32 v83, -0.5, v17
	v_sub_f32_e32 v2, v2, v34
	v_sub_f32_e32 v5, v21, v18
	v_add_f32_e32 v13, v13, v14
	v_sub_f32_e32 v14, v15, v27
	v_add_f32_e32 v18, v9, v88
	v_fmac_f32_e32 v23, 0x3f167918, v10
	v_fmac_f32_e32 v33, 0xbf167918, v10
	v_fmamk_f32 v34, v10, 0xbf737871, v83
	v_sub_f32_e32 v9, v22, v88
	v_fmac_f32_e32 v83, 0x3f737871, v10
	v_fmac_f32_e32 v23, 0x3e9e377a, v13
	;; [unrolled: 1-line block ×4, first 2 shown]
	v_add_f32_e32 v9, v14, v9
	v_add_f32_e32 v10, v68, v77
	v_sub_f32_e32 v13, v69, v68
	v_sub_f32_e32 v14, v29, v77
	v_fmac_f32_e32 v83, 0xbf167918, v12
	v_add_f32_e32 v12, v69, v29
	v_fma_f32 v15, -0.5, v10, v26
	v_sub_f32_e32 v10, v25, v70
	v_add_f32_e32 v13, v13, v14
	v_add_f32_e32 v14, v26, v69
	v_fmac_f32_e32 v26, -0.5, v12
	v_sub_f32_e32 v12, v19, v32
	v_fmamk_f32 v17, v10, 0xbf737871, v15
	v_fmac_f32_e32 v15, 0x3f737871, v10
	v_sub_f32_e32 v21, v68, v69
	v_sub_f32_e32 v22, v77, v29
	v_fmamk_f32 v24, v12, 0x3f737871, v26
	v_fmac_f32_e32 v26, 0xbf737871, v12
	v_fmac_f32_e32 v17, 0xbf167918, v12
	;; [unrolled: 1-line block ×3, first 2 shown]
	v_add_f32_e32 v12, v21, v22
	v_fmac_f32_e32 v24, 0xbf167918, v10
	v_fmac_f32_e32 v26, 0x3f167918, v10
	;; [unrolled: 1-line block ×4, first 2 shown]
	v_add_f32_e32 v9, v14, v68
	v_fmac_f32_e32 v24, 0x3e9e377a, v12
	v_fmac_f32_e32 v26, 0x3e9e377a, v12
	v_add_f32_e32 v12, v19, v32
	v_add_f32_e32 v14, v25, v70
	v_fmac_f32_e32 v17, 0x3e9e377a, v13
	v_fmac_f32_e32 v15, 0x3e9e377a, v13
	v_add_f32_e32 v10, v28, v25
	v_sub_f32_e32 v13, v68, v77
	v_fma_f32 v12, -0.5, v12, v28
	v_fmac_f32_e32 v28, -0.5, v14
	v_sub_f32_e32 v21, v25, v19
	v_sub_f32_e32 v22, v69, v29
	;; [unrolled: 1-line block ×4, first 2 shown]
	v_fmamk_f32 v50, v13, 0xbf737871, v28
	v_fmac_f32_e32 v28, 0x3f737871, v13
	v_add_f32_e32 v10, v10, v19
	v_sub_f32_e32 v19, v70, v32
	v_fmamk_f32 v27, v22, 0x3f737871, v12
	v_add_f32_e32 v14, v14, v25
	v_fmac_f32_e32 v28, 0xbf167918, v22
	v_fmac_f32_e32 v12, 0xbf737871, v22
	v_add_f32_e32 v9, v9, v77
	v_add_f32_e32 v19, v21, v19
	v_fmac_f32_e32 v27, 0x3f167918, v13
	v_fmac_f32_e32 v50, 0x3f167918, v22
	;; [unrolled: 1-line block ×4, first 2 shown]
	v_add_f32_e32 v22, v9, v29
	v_fmac_f32_e32 v27, 0x3e9e377a, v19
	v_fmac_f32_e32 v50, 0x3e9e377a, v14
	v_mul_f32_e32 v14, 0xbf737871, v28
	v_mul_f32_e32 v9, 0xbe9e377a, v28
	v_fmac_f32_e32 v12, 0x3e9e377a, v19
	v_add_f32_e32 v10, v10, v32
	v_mul_f32_e32 v25, 0xbf167918, v27
	v_fmac_f32_e32 v14, 0xbe9e377a, v26
	v_fmac_f32_e32 v9, 0x3f737871, v26
	v_mul_f32_e32 v26, 0xbf167918, v12
	v_mul_f32_e32 v27, 0x3f4f1bbd, v27
	;; [unrolled: 1-line block ×5, first 2 shown]
	v_add_nc_u32_e32 v50, 0xffffff9c, v38
	v_add_f32_e32 v21, v10, v70
	v_fmac_f32_e32 v25, 0x3f4f1bbd, v17
	v_fmac_f32_e32 v26, 0xbf4f1bbd, v15
	v_fmac_f32_e32 v27, 0x3f167918, v17
	v_fmac_f32_e32 v29, 0x3f737871, v24
	v_fmac_f32_e32 v28, 0x3e9e377a, v24
	v_fmac_f32_e32 v32, 0x3f167918, v15
	v_cndmask_b32_e64 v62, v50, v38, s0
	v_add_f32_e32 v10, v83, v9
	v_sub_f32_e32 v12, v83, v9
	v_add_f32_e32 v13, v16, v22
	v_add_f32_e32 v9, v11, v14
	v_sub_f32_e32 v11, v11, v14
	v_add_f32_e32 v15, v20, v25
	v_add_f32_e32 v14, v18, v21
	v_sub_f32_e32 v17, v16, v22
	v_sub_f32_e32 v18, v18, v21
	v_add_f32_e32 v16, v23, v27
	v_sub_f32_e32 v21, v20, v25
	v_sub_f32_e32 v22, v23, v27
	v_add_f32_e32 v23, v30, v26
	v_add_f32_e32 v20, v34, v29
	v_sub_f32_e32 v27, v30, v26
	v_sub_f32_e32 v26, v34, v29
	v_lshrrev_b16 v30, 2, v40
	v_mov_b32_e32 v34, 0x147b
	v_sub_f32_e32 v3, v63, v71
	v_add_f32_e32 v19, v31, v28
	v_add_f32_e32 v24, v33, v32
	v_sub_f32_e32 v25, v31, v28
	v_sub_f32_e32 v28, v33, v32
	v_mul_i32_i24_e32 v31, 9, v62
	v_mov_b32_e32 v32, 0
	v_mul_u32_u24_e32 v29, 0x320, v61
	v_lshlrev_b32_sdwa v50, v49, v60 dst_sel:DWORD dst_unused:UNUSED_PAD src0_sel:DWORD src1_sel:WORD_0
	v_mul_u32_u24_sdwa v30, v30, v34 dst_sel:DWORD dst_unused:UNUSED_PAD src0_sel:WORD_0 src1_sel:DWORD
	ds_write2_b64 v0, v[3:4], v[5:6] offset0:60 offset1:70
	ds_write2_b64 v0, v[1:2], v[7:8] offset0:80 offset1:90
	v_lshlrev_b64 v[0:1], 3, v[31:32]
	v_add3_u32 v29, 0, v29, v50
	v_lshrrev_b32_e32 v50, 17, v30
	ds_write2_b64 v29, v[13:14], v[15:16] offset1:10
	ds_write2_b64 v29, v[19:20], v[9:10] offset0:20 offset1:30
	ds_write2_b64 v29, v[23:24], v[17:18] offset0:40 offset1:50
	ds_write2_b64 v29, v[21:22], v[25:26] offset0:60 offset1:70
	v_mul_lo_u16 v2, 0x64, v50
	v_add_co_u32 v24, s0, s12, v0
	v_add_co_ci_u32_e64 v25, s0, s13, v1, s0
	v_sub_nc_u16 v60, v40, v2
	ds_write2_b64 v29, v[11:12], v[27:28] offset0:80 offset1:90
	s_waitcnt lgkmcnt(0)
	s_barrier
	buffer_gl0_inv
	global_load_dwordx4 v[4:7], v[24:25], off offset:720
	v_mul_u32_u24_sdwa v0, v60, v59 dst_sel:DWORD dst_unused:UNUSED_PAD src0_sel:WORD_0 src1_sel:DWORD
	v_cmp_lt_u32_e64 s0, 0x63, v38
	v_lshlrev_b32_e32 v59, 3, v0
	s_clause 0x8
	global_load_dwordx2 v[33:34], v[24:25], off offset:784
	global_load_dwordx4 v[0:3], v59, s[12:13] offset:768
	global_load_dwordx4 v[16:19], v[24:25], off offset:768
	global_load_dwordx4 v[20:23], v59, s[12:13] offset:752
	global_load_dwordx4 v[12:15], v[24:25], off offset:752
	;; [unrolled: 2-line block ×3, first 2 shown]
	global_load_dwordx4 v[28:31], v59, s[12:13] offset:720
	global_load_dwordx2 v[75:76], v59, s[12:13] offset:784
	ds_read_b64 v[77:78], v54
	ds_read_b64 v[79:80], v53
	ds_read2_b64 v[63:66], v41 offset0:8 offset1:208
	ds_read2_b64 v[67:70], v55 offset0:24 offset1:224
	ds_read_b64 v[81:82], v51 offset:30400
	ds_read2_b64 v[71:74], v56 offset0:40 offset1:240
	ds_read_b64 v[83:84], v58
	s_waitcnt vmcnt(9) lgkmcnt(6)
	v_mul_f32_e32 v59, v5, v78
	v_mul_f32_e32 v5, v5, v77
	s_waitcnt lgkmcnt(5)
	v_mul_f32_e32 v61, v7, v80
	v_mul_f32_e32 v7, v7, v79
	s_waitcnt vmcnt(7) lgkmcnt(3)
	v_mul_f32_e32 v85, v68, v1
	v_fmac_f32_e32 v59, v4, v77
	v_fma_f32 v77, v4, v78, -v5
	v_fmac_f32_e32 v61, v6, v79
	v_mul_f32_e32 v78, v66, v34
	v_fma_f32 v79, v6, v80, -v7
	v_mul_f32_e32 v7, v65, v34
	v_mul_f32_e32 v34, v64, v3
	v_mul_f32_e32 v80, v63, v3
	ds_read2_b64 v[3:6], v57 offset0:24 offset1:224
	v_fmac_f32_e32 v78, v65, v33
	v_mul_f32_e32 v1, v67, v1
	v_fma_f32 v33, v66, v33, -v7
	v_fmac_f32_e32 v34, v63, v2
	v_fma_f32 v80, v64, v2, -v80
	ds_read2_b64 v[63:66], v47 offset0:8 offset1:208
	v_fmac_f32_e32 v85, v67, v0
	v_fma_f32 v67, v68, v0, -v1
	s_waitcnt vmcnt(6)
	v_mul_f32_e32 v68, v70, v19
	v_mul_f32_e32 v0, v69, v19
	s_waitcnt lgkmcnt(3)
	v_mul_f32_e32 v86, v74, v17
	v_mul_f32_e32 v1, v73, v17
	v_fmac_f32_e32 v68, v69, v18
	s_waitcnt vmcnt(5)
	v_mul_f32_e32 v69, v72, v23
	v_fma_f32 v70, v70, v18, -v0
	v_fmac_f32_e32 v86, v73, v16
	v_fma_f32 v73, v74, v16, -v1
	v_mul_f32_e32 v0, v71, v23
	s_waitcnt lgkmcnt(1)
	v_mul_f32_e32 v23, v4, v21
	ds_read2_b64 v[16:19], v35 offset0:24 offset1:224
	v_mul_f32_e32 v1, v3, v21
	v_fmac_f32_e32 v69, v71, v22
	s_waitcnt vmcnt(4)
	v_mul_f32_e32 v21, v6, v15
	v_fma_f32 v22, v72, v22, -v0
	v_mul_f32_e32 v7, v5, v15
	v_fmac_f32_e32 v23, v3, v20
	v_fma_f32 v15, v4, v20, -v1
	ds_read2_b64 v[0:3], v48 offset0:40 offset1:240
	v_fmac_f32_e32 v21, v5, v14
	ds_read_b64 v[4:5], v51 offset:4800
	v_fma_f32 v14, v6, v14, -v7
	s_waitcnt lgkmcnt(3)
	v_mul_f32_e32 v6, v65, v13
	s_waitcnt vmcnt(3)
	v_mul_f32_e32 v71, v64, v11
	v_mul_f32_e32 v7, v63, v11
	;; [unrolled: 1-line block ×3, first 2 shown]
	v_fma_f32 v11, v66, v12, -v6
	v_fmac_f32_e32 v71, v63, v10
	v_fma_f32 v63, v64, v10, -v7
	ds_read_b64 v[6:7], v51
	v_fmac_f32_e32 v20, v65, v12
	s_waitcnt lgkmcnt(3)
	v_mul_f32_e32 v64, v17, v9
	v_mul_f32_e32 v9, v16, v9
	s_waitcnt vmcnt(2)
	v_mul_f32_e32 v10, v27, v19
	v_mul_f32_e32 v12, v27, v18
	v_sub_f32_e32 v87, v20, v86
	v_fmac_f32_e32 v64, v16, v8
	v_fma_f32 v16, v17, v8, -v9
	v_fmac_f32_e32 v10, v26, v18
	s_waitcnt lgkmcnt(2)
	v_mul_f32_e32 v8, v25, v3
	v_fma_f32 v9, v26, v19, -v12
	v_mul_f32_e32 v12, v25, v2
	s_waitcnt vmcnt(1)
	v_mul_f32_e32 v17, v1, v31
	v_mul_f32_e32 v13, v0, v31
	v_fmac_f32_e32 v8, v24, v2
	v_sub_f32_e32 v2, v10, v61
	v_fma_f32 v12, v24, v3, -v12
	v_fmac_f32_e32 v17, v0, v30
	v_fma_f32 v19, v1, v30, -v13
	v_add_f32_e32 v0, v61, v68
	s_waitcnt lgkmcnt(1)
	v_mul_f32_e32 v1, v4, v29
	v_sub_f32_e32 v3, v21, v68
	v_mul_f32_e32 v18, v5, v29
	v_sub_f32_e32 v13, v9, v14
	s_waitcnt lgkmcnt(0)
	v_fma_f32 v24, -0.5, v0, v6
	v_fma_f32 v25, v5, v28, -v1
	v_add_f32_e32 v0, v9, v14
	v_add_f32_e32 v1, v2, v3
	v_add_f32_e32 v2, v79, v70
	v_fmac_f32_e32 v18, v4, v28
	v_add_f32_e32 v4, v7, v79
	v_fma_f32 v27, -0.5, v0, v7
	v_sub_f32_e32 v28, v10, v21
	v_fmac_f32_e32 v7, -0.5, v2
	v_sub_f32_e32 v0, v9, v79
	v_sub_f32_e32 v2, v14, v70
	;; [unrolled: 1-line block ×3, first 2 shown]
	v_fmamk_f32 v26, v13, 0x3f737871, v24
	v_fmamk_f32 v29, v28, 0xbf737871, v7
	v_fmac_f32_e32 v7, 0x3f737871, v28
	v_sub_f32_e32 v3, v79, v70
	v_fmac_f32_e32 v24, 0xbf737871, v13
	v_add_f32_e32 v0, v0, v2
	v_fmac_f32_e32 v29, 0x3f167918, v5
	v_fmac_f32_e32 v7, 0xbf167918, v5
	v_add_f32_e32 v2, v20, v86
	v_fmac_f32_e32 v26, 0xbf167918, v3
	v_fmac_f32_e32 v24, 0x3f167918, v3
	;; [unrolled: 1-line block ×4, first 2 shown]
	v_fma_f32 v30, -0.5, v2, v59
	v_add_f32_e32 v0, v11, v73
	v_add_f32_e32 v2, v12, v33
	v_fmac_f32_e32 v26, 0x3e9e377a, v1
	v_fmac_f32_e32 v24, 0x3e9e377a, v1
	v_add_f32_e32 v1, v8, v78
	v_fma_f32 v72, -0.5, v0, v77
	v_add_f32_e32 v74, v77, v12
	v_fmac_f32_e32 v77, -0.5, v2
	v_add_f32_e32 v31, v59, v8
	v_fmac_f32_e32 v59, -0.5, v1
	v_sub_f32_e32 v1, v20, v8
	v_sub_f32_e32 v65, v86, v78
	;; [unrolled: 1-line block ×5, first 2 shown]
	v_fmamk_f32 v88, v87, 0xbf737871, v77
	v_sub_f32_e32 v89, v8, v78
	v_fmac_f32_e32 v77, 0x3f737871, v87
	v_add_f32_e32 v1, v1, v65
	v_fmamk_f32 v65, v66, 0x3f737871, v59
	v_add_f32_e32 v0, v0, v2
	v_sub_f32_e32 v90, v12, v33
	v_fmac_f32_e32 v59, 0xbf737871, v66
	v_fmac_f32_e32 v88, 0x3f167918, v89
	;; [unrolled: 1-line block ×3, first 2 shown]
	v_add_f32_e32 v4, v4, v9
	v_fmac_f32_e32 v65, 0xbf167918, v90
	v_fmac_f32_e32 v59, 0x3f167918, v90
	;; [unrolled: 1-line block ×4, first 2 shown]
	v_add_f32_e32 v0, v6, v61
	v_fmac_f32_e32 v65, 0x3e9e377a, v1
	v_fmac_f32_e32 v59, 0x3e9e377a, v1
	v_lshlrev_b32_e32 v1, 3, v62
	v_mul_f32_e32 v92, 0xbf737871, v77
	v_mul_f32_e32 v77, 0xbe9e377a, v77
	v_cndmask_b32_e64 v2, 0, 0x1f40, s0
	v_add_f32_e32 v0, v0, v10
	v_sub_f32_e32 v9, v79, v9
	v_add_f32_e32 v4, v4, v14
	v_sub_f32_e32 v14, v70, v14
	v_mul_f32_e32 v91, 0xbf737871, v88
	v_mul_f32_e32 v88, 0x3e9e377a, v88
	v_fmac_f32_e32 v92, 0xbe9e377a, v59
	v_fmac_f32_e32 v77, 0x3f737871, v59
	v_add3_u32 v59, 0, v2, v1
	v_add_f32_e32 v1, v10, v21
	v_add_f32_e32 v0, v0, v21
	;; [unrolled: 1-line block ×4, first 2 shown]
	v_sub_f32_e32 v4, v8, v20
	v_sub_f32_e32 v8, v12, v11
	v_fmamk_f32 v12, v89, 0x3f737871, v72
	v_sub_f32_e32 v9, v33, v73
	v_fmac_f32_e32 v72, 0xbf737871, v89
	v_fmac_f32_e32 v91, 0x3e9e377a, v65
	;; [unrolled: 1-line block ×3, first 2 shown]
	v_sub_f32_e32 v2, v61, v10
	v_sub_f32_e32 v10, v68, v21
	v_fma_f32 v6, -0.5, v1, v6
	v_add_f32_e32 v21, v0, v68
	v_fmamk_f32 v65, v90, 0xbf737871, v30
	v_fmac_f32_e32 v30, 0x3f737871, v90
	v_sub_f32_e32 v68, v78, v86
	v_add_f32_e32 v70, v8, v9
	v_fmac_f32_e32 v72, 0xbf167918, v87
	v_fmac_f32_e32 v12, 0x3f167918, v87
	v_fmamk_f32 v61, v3, 0xbf737871, v6
	v_add_f32_e32 v8, v31, v20
	v_fmamk_f32 v20, v5, 0x3f737871, v27
	v_add_f32_e32 v31, v4, v68
	v_fmac_f32_e32 v30, 0x3f167918, v66
	v_fmac_f32_e32 v72, 0x3e9e377a, v70
	;; [unrolled: 1-line block ×3, first 2 shown]
	v_add_f32_e32 v5, v74, v11
	v_fmac_f32_e32 v65, 0xbf167918, v66
	v_fmac_f32_e32 v12, 0x3e9e377a, v70
	;; [unrolled: 1-line block ×3, first 2 shown]
	v_add_f32_e32 v10, v2, v10
	v_add_f32_e32 v4, v8, v86
	v_fmac_f32_e32 v30, 0x3e9e377a, v31
	v_mul_f32_e32 v68, 0xbf167918, v72
	v_mul_f32_e32 v72, 0xbf4f1bbd, v72
	v_fmac_f32_e32 v27, 0xbf167918, v28
	v_add_f32_e32 v5, v5, v73
	v_fmac_f32_e32 v61, 0xbf167918, v13
	v_fmac_f32_e32 v20, 0x3f167918, v28
	;; [unrolled: 1-line block ×3, first 2 shown]
	v_mul_f32_e32 v28, 0xbf167918, v12
	v_mul_f32_e32 v31, 0x3f4f1bbd, v12
	v_fmac_f32_e32 v6, 0x3f167918, v13
	v_fmac_f32_e32 v68, 0xbf4f1bbd, v30
	;; [unrolled: 1-line block ×3, first 2 shown]
	v_add_f32_e32 v11, v4, v78
	v_add_f32_e32 v30, v5, v33
	v_fmac_f32_e32 v61, 0x3e9e377a, v10
	v_fmac_f32_e32 v20, 0x3e9e377a, v14
	;; [unrolled: 1-line block ×6, first 2 shown]
	v_add_f32_e32 v0, v26, v91
	v_add_f32_e32 v1, v29, v88
	;; [unrolled: 1-line block ×4, first 2 shown]
	v_add_nc_u32_e32 v79, 0x400, v59
	v_sub_f32_e32 v8, v21, v11
	v_add_f32_e32 v10, v21, v11
	v_add_f32_e32 v11, v62, v30
	;; [unrolled: 1-line block ×6, first 2 shown]
	v_sub_f32_e32 v9, v62, v30
	v_add_nc_u32_e32 v33, 0x800, v59
	s_waitcnt vmcnt(0)
	s_barrier
	buffer_gl0_inv
	ds_write2_b64 v79, v[0:1], v[2:3] offset0:72 offset1:172
	ds_write2_b64 v33, v[4:5], v[8:9] offset0:144 offset1:244
	ds_write2_b64 v59, v[10:11], v[12:13] offset1:100
	v_add_f32_e32 v5, v71, v69
	v_sub_f32_e32 v10, v17, v71
	v_sub_f32_e32 v11, v34, v69
	v_add_f32_e32 v12, v17, v34
	v_sub_f32_e32 v4, v26, v91
	v_fma_f32 v26, -0.5, v5, v83
	v_sub_f32_e32 v9, v19, v80
	v_sub_f32_e32 v13, v63, v22
	v_add_f32_e32 v10, v10, v11
	v_fma_f32 v12, -0.5, v12, v83
	v_add_f32_e32 v11, v83, v17
	v_mul_f32_e32 v14, v81, v76
	v_sub_f32_e32 v0, v24, v92
	v_sub_f32_e32 v3, v20, v31
	v_fmamk_f32 v20, v9, 0xbf737871, v26
	v_fmac_f32_e32 v26, 0x3f737871, v9
	v_fmamk_f32 v24, v13, 0x3f737871, v12
	v_fmac_f32_e32 v12, 0xbf737871, v13
	v_add_f32_e32 v11, v11, v71
	v_fma_f32 v8, v82, v75, -v14
	v_fmac_f32_e32 v20, 0xbf167918, v13
	v_sub_f32_e32 v14, v71, v17
	v_sub_f32_e32 v21, v69, v34
	v_fmac_f32_e32 v26, 0x3f167918, v13
	v_fmac_f32_e32 v24, 0xbf167918, v9
	;; [unrolled: 1-line block ×3, first 2 shown]
	v_add_f32_e32 v9, v11, v69
	v_add_f32_e32 v13, v14, v21
	v_fmac_f32_e32 v20, 0x3e9e377a, v10
	v_fmac_f32_e32 v26, 0x3e9e377a, v10
	v_add_f32_e32 v10, v63, v22
	v_add_f32_e32 v14, v9, v34
	;; [unrolled: 1-line block ×3, first 2 shown]
	v_sub_f32_e32 v1, v7, v77
	v_sub_f32_e32 v7, v27, v72
	;; [unrolled: 1-line block ×3, first 2 shown]
	v_fma_f32 v27, -0.5, v10, v84
	v_add_f32_e32 v9, v9, v63
	v_add_f32_e32 v21, v19, v80
	v_mul_f32_e32 v66, v82, v76
	v_sub_f32_e32 v2, v61, v28
	v_fmac_f32_e32 v24, 0x3e9e377a, v13
	v_fmac_f32_e32 v12, 0x3e9e377a, v13
	v_sub_f32_e32 v13, v19, v63
	v_sub_f32_e32 v17, v80, v22
	;; [unrolled: 1-line block ×3, first 2 shown]
	v_add_f32_e32 v9, v9, v22
	v_fmamk_f32 v28, v11, 0x3f737871, v27
	v_fmac_f32_e32 v27, 0xbf737871, v11
	v_fmac_f32_e32 v84, -0.5, v21
	v_fmac_f32_e32 v66, v81, v75
	v_sub_f32_e32 v5, v29, v88
	v_add_f32_e32 v13, v13, v17
	v_sub_f32_e32 v17, v63, v19
	v_add_f32_e32 v19, v9, v80
	v_fmac_f32_e32 v28, 0x3f167918, v10
	v_fmac_f32_e32 v27, 0xbf167918, v10
	v_sub_f32_e32 v9, v22, v80
	v_fmamk_f32 v29, v10, 0xbf737871, v84
	v_fmac_f32_e32 v84, 0x3f737871, v10
	v_fmac_f32_e32 v28, 0x3e9e377a, v13
	;; [unrolled: 1-line block ×3, first 2 shown]
	v_add_f32_e32 v9, v17, v9
	v_fmac_f32_e32 v29, 0x3f167918, v11
	v_add_f32_e32 v10, v23, v85
	v_sub_f32_e32 v13, v64, v23
	v_sub_f32_e32 v17, v66, v85
	v_fmac_f32_e32 v84, 0xbf167918, v11
	v_add_f32_e32 v11, v64, v66
	v_fma_f32 v21, -0.5, v10, v18
	v_sub_f32_e32 v10, v16, v8
	v_add_f32_e32 v13, v13, v17
	v_add_f32_e32 v17, v18, v64
	v_fmac_f32_e32 v18, -0.5, v11
	v_sub_f32_e32 v11, v15, v67
	v_fmamk_f32 v22, v10, 0xbf737871, v21
	v_fmac_f32_e32 v21, 0x3f737871, v10
	v_sub_f32_e32 v30, v23, v64
	v_sub_f32_e32 v31, v85, v66
	v_fmamk_f32 v33, v11, 0x3f737871, v18
	v_fmac_f32_e32 v18, 0xbf737871, v11
	v_fmac_f32_e32 v22, 0xbf167918, v11
	v_fmac_f32_e32 v21, 0x3f167918, v11
	v_add_f32_e32 v11, v30, v31
	v_fmac_f32_e32 v33, 0xbf167918, v10
	v_fmac_f32_e32 v18, 0x3f167918, v10
	v_add_f32_e32 v10, v15, v67
	v_fmac_f32_e32 v29, 0x3e9e377a, v9
	v_fmac_f32_e32 v84, 0x3e9e377a, v9
	;; [unrolled: 1-line block ×4, first 2 shown]
	v_add_f32_e32 v11, v16, v8
	v_fmac_f32_e32 v22, 0x3e9e377a, v13
	v_add_f32_e32 v9, v17, v23
	v_fmac_f32_e32 v21, 0x3e9e377a, v13
	v_sub_f32_e32 v13, v64, v66
	v_sub_f32_e32 v17, v23, v85
	v_fma_f32 v23, -0.5, v10, v25
	v_add_f32_e32 v10, v25, v16
	v_fmac_f32_e32 v25, -0.5, v11
	v_sub_f32_e32 v11, v16, v15
	v_sub_f32_e32 v30, v8, v67
	;; [unrolled: 1-line block ×4, first 2 shown]
	v_fmamk_f32 v34, v17, 0xbf737871, v25
	v_fmac_f32_e32 v25, 0x3f737871, v17
	v_add_f32_e32 v11, v11, v30
	v_fmamk_f32 v30, v13, 0x3f737871, v23
	v_add_f32_e32 v10, v10, v15
	v_add_f32_e32 v15, v16, v31
	v_fmac_f32_e32 v25, 0xbf167918, v13
	v_fmac_f32_e32 v34, 0x3f167918, v13
	;; [unrolled: 1-line block ×4, first 2 shown]
	v_add_f32_e32 v10, v10, v67
	v_fmac_f32_e32 v25, 0x3e9e377a, v15
	v_fmac_f32_e32 v34, 0x3e9e377a, v15
	;; [unrolled: 1-line block ×4, first 2 shown]
	v_add_f32_e32 v17, v10, v8
	v_mul_f32_e32 v8, 0xbe9e377a, v25
	v_mul_f32_e32 v10, 0xbf737871, v25
	;; [unrolled: 1-line block ×3, first 2 shown]
	v_add_f32_e32 v9, v9, v85
	v_mul_f32_e32 v31, 0xbf167918, v30
	v_mul_f32_e32 v30, 0xbf737871, v34
	v_fmac_f32_e32 v23, 0x3e9e377a, v11
	v_fmac_f32_e32 v25, 0x3f167918, v22
	v_add_f32_e32 v16, v9, v66
	v_fmac_f32_e32 v8, 0x3f737871, v18
	v_fmac_f32_e32 v31, 0x3f4f1bbd, v22
	;; [unrolled: 1-line block ×3, first 2 shown]
	v_mul_f32_e32 v34, 0x3e9e377a, v34
	v_fmac_f32_e32 v30, 0x3e9e377a, v33
	v_add_f32_e32 v13, v19, v17
	v_sub_f32_e32 v15, v19, v17
	v_add_f32_e32 v17, v28, v25
	v_sub_f32_e32 v19, v28, v25
	v_mul_u32_u24_e32 v25, 0x1f40, v50
	v_lshlrev_b32_sdwa v28, v49, v60 dst_sel:DWORD dst_unused:UNUSED_PAD src0_sel:DWORD src1_sel:WORD_0
	v_add_f32_e32 v9, v84, v8
	v_sub_f32_e32 v11, v84, v8
	v_add_f32_e32 v8, v12, v10
	v_sub_f32_e32 v10, v12, v10
	v_add_f32_e32 v12, v14, v16
	v_fmac_f32_e32 v34, 0x3f737871, v33
	v_mul_f32_e32 v33, 0xbf167918, v23
	v_sub_f32_e32 v14, v14, v16
	v_add_f32_e32 v16, v20, v31
	v_mul_f32_e32 v61, 0xbf4f1bbd, v23
	v_sub_f32_e32 v18, v20, v31
	v_add_f32_e32 v20, v24, v30
	v_sub_f32_e32 v24, v24, v30
	v_add_nc_u32_e32 v30, 0x1000, v59
	v_sub_f32_e32 v6, v6, v68
	v_add3_u32 v28, 0, v25, v28
	v_add_nc_u32_e32 v31, 0x1800, v59
	v_fmac_f32_e32 v33, 0xbf4f1bbd, v21
	v_fmac_f32_e32 v61, 0x3f167918, v21
	ds_write2_b64 v30, v[2:3], v[4:5] offset0:88 offset1:188
	ds_write2_b64 v31, v[0:1], v[6:7] offset0:32 offset1:132
	v_mul_u32_u24_e32 v1, 3, v38
	v_add_f32_e32 v21, v29, v34
	v_add_nc_u32_e32 v0, 0x400, v28
	v_add_f32_e32 v22, v26, v33
	v_add_f32_e32 v23, v27, v61
	v_add_nc_u32_e32 v2, 0x800, v28
	ds_write2_b64 v28, v[12:13], v[16:17] offset1:100
	ds_write2_b64 v0, v[20:21], v[8:9] offset0:72 offset1:172
	v_lshlrev_b32_e32 v0, 3, v1
	v_sub_f32_e32 v25, v29, v34
	v_add_nc_u32_e32 v3, 0x1000, v28
	v_mul_i32_i24_e32 v31, 3, v40
	ds_write2_b64 v2, v[22:23], v[14:15] offset0:144 offset1:244
	ds_write2_b64 v3, v[18:19], v[24:25] offset0:88 offset1:188
	v_add_co_u32 v18, s0, s12, v0
	v_sub_f32_e32 v26, v26, v33
	v_sub_f32_e32 v27, v27, v61
	v_add_nc_u32_e32 v1, 0x1800, v28
	v_add_co_ci_u32_e64 v19, null, s13, 0, s0
	v_lshlrev_b64 v[4:5], 3, v[31:32]
	v_add_co_u32 v0, s0, 0x1800, v18
	v_mul_i32_i24_e32 v31, 3, v46
	ds_write2_b64 v1, v[10:11], v[26:27] offset0:32 offset1:132
	v_add_co_ci_u32_e64 v1, s0, 0, v19, s0
	v_add_co_u32 v22, s0, s12, v4
	v_add_co_ci_u32_e64 v23, s0, s13, v5, s0
	v_lshlrev_b64 v[4:5], 3, v[31:32]
	v_add_co_u32 v6, s0, 0x1800, v22
	v_mul_i32_i24_e32 v31, 3, v45
	v_add_co_ci_u32_e64 v7, s0, 0, v23, s0
	v_add_co_u32 v24, s0, s12, v4
	v_add_co_ci_u32_e64 v25, s0, s13, v5, s0
	v_lshlrev_b64 v[12:13], 3, v[31:32]
	s_waitcnt lgkmcnt(0)
	s_barrier
	buffer_gl0_inv
	global_load_dwordx4 v[0:3], v[0:1], off offset:1776
	v_add_co_u32 v8, s0, 0x1800, v24
	v_add_co_ci_u32_e64 v9, s0, 0, v25, s0
	v_mul_i32_i24_e32 v31, 3, v44
	v_add_co_u32 v26, s0, s12, v12
	v_add_co_ci_u32_e64 v27, s0, s13, v13, s0
	s_clause 0x1
	global_load_dwordx4 v[4:7], v[6:7], off offset:1776
	global_load_dwordx4 v[8:11], v[8:9], off offset:1776
	v_lshlrev_b64 v[12:13], 3, v[31:32]
	v_add_co_u32 v14, s0, 0x1800, v26
	v_add_co_ci_u32_e64 v15, s0, 0, v27, s0
	v_add_co_u32 v28, s0, s12, v12
	v_add_co_ci_u32_e64 v29, s0, s13, v13, s0
	global_load_dwordx4 v[12:15], v[14:15], off offset:1776
	v_add_co_u32 v16, s0, 0x1800, v28
	v_add_co_ci_u32_e64 v17, s0, 0, v29, s0
	v_add_co_u32 v20, s0, 0x1ef0, v18
	v_add_co_ci_u32_e64 v21, s0, 0, v19, s0
	global_load_dwordx4 v[16:19], v[16:17], off offset:1776
	v_add_co_u32 v22, s0, 0x1ef0, v22
	v_add_co_ci_u32_e64 v23, s0, 0, v23, s0
	s_clause 0x1
	global_load_dwordx2 v[33:34], v[20:21], off offset:16
	global_load_dwordx2 v[63:64], v[22:23], off offset:16
	v_add_co_u32 v20, s0, 0x1ef0, v24
	v_add_co_ci_u32_e64 v21, s0, 0, v25, s0
	v_add_co_u32 v22, s0, 0x1ef0, v26
	v_add_co_ci_u32_e64 v23, s0, 0, v27, s0
	s_clause 0x1
	global_load_dwordx2 v[65:66], v[20:21], off offset:16
	global_load_dwordx2 v[67:68], v[22:23], off offset:16
	v_add_co_u32 v20, s0, 0x1ef0, v28
	v_add_co_ci_u32_e64 v21, s0, 0, v29, s0
	global_load_dwordx2 v[69:70], v[20:21], off offset:16
	ds_read2_b64 v[20:23], v48 offset0:40 offset1:240
	ds_read2_b64 v[24:27], v47 offset0:8 offset1:208
	;; [unrolled: 1-line block ×5, first 2 shown]
	s_waitcnt vmcnt(9) lgkmcnt(4)
	v_mul_f32_e32 v35, v1, v21
	v_mul_f32_e32 v1, v1, v20
	s_waitcnt lgkmcnt(3)
	v_mul_f32_e32 v57, v3, v27
	v_mul_f32_e32 v3, v3, v26
	v_fmac_f32_e32 v35, v0, v20
	v_fma_f32 v20, v0, v21, -v1
	v_fmac_f32_e32 v57, v2, v26
	v_fma_f32 v26, v2, v27, -v3
	s_waitcnt vmcnt(8)
	v_mul_f32_e32 v21, v5, v23
	v_mul_f32_e32 v0, v5, v22
	s_waitcnt vmcnt(7) lgkmcnt(2)
	v_mul_f32_e32 v27, v31, v11
	v_mul_f32_e32 v1, v30, v11
	v_fmac_f32_e32 v21, v4, v22
	v_mul_f32_e32 v22, v29, v7
	v_fma_f32 v23, v4, v23, -v0
	v_mul_f32_e32 v0, v28, v7
	v_fmac_f32_e32 v27, v30, v10
	v_fma_f32 v30, v31, v10, -v1
	v_fmac_f32_e32 v22, v28, v6
	s_waitcnt lgkmcnt(1)
	v_mul_f32_e32 v28, v48, v9
	v_fma_f32 v29, v29, v6, -v0
	v_mul_f32_e32 v4, v47, v9
	ds_read2_b64 v[0:3], v55 offset0:24 offset1:224
	s_waitcnt vmcnt(6)
	v_mul_f32_e32 v31, v50, v13
	v_mul_f32_e32 v5, v49, v13
	v_fmac_f32_e32 v28, v47, v8
	v_fma_f32 v47, v48, v8, -v4
	s_waitcnt lgkmcnt(1)
	v_mul_f32_e32 v8, v59, v15
	v_fmac_f32_e32 v31, v49, v12
	v_fma_f32 v49, v50, v12, -v5
	ds_read2_b64 v[4:7], v41 offset0:8 offset1:208
	s_waitcnt vmcnt(5)
	v_mul_f32_e32 v9, v24, v17
	v_fma_f32 v55, v60, v14, -v8
	v_mul_f32_e32 v48, v60, v15
	v_mul_f32_e32 v41, v25, v17
	;; [unrolled: 1-line block ×3, first 2 shown]
	v_fma_f32 v56, v25, v16, -v9
	ds_read_b64 v[8:9], v51
	v_fmac_f32_e32 v48, v59, v14
	v_mul_f32_e32 v50, v62, v19
	v_fmac_f32_e32 v41, v24, v16
	v_fma_f32 v59, v62, v18, -v10
	ds_read_b64 v[10:11], v51 offset:30400
	s_waitcnt vmcnt(4) lgkmcnt(3)
	v_mul_f32_e32 v12, v34, v1
	v_mul_f32_e32 v13, v34, v0
	s_waitcnt vmcnt(3)
	v_mul_f32_e32 v16, v3, v64
	v_mul_f32_e32 v14, v2, v64
	v_fmac_f32_e32 v50, v61, v18
	v_fmac_f32_e32 v12, v33, v0
	v_fma_f32 v13, v33, v1, -v13
	s_waitcnt vmcnt(2) lgkmcnt(2)
	v_mul_f32_e32 v0, v4, v66
	s_waitcnt vmcnt(1)
	v_mul_f32_e32 v33, v7, v68
	v_fmac_f32_e32 v16, v2, v63
	v_mul_f32_e32 v17, v5, v66
	v_mul_f32_e32 v15, v6, v68
	v_fma_f32 v18, v3, v63, -v14
	v_fma_f32 v19, v5, v65, -v0
	v_fmac_f32_e32 v33, v6, v67
	ds_read_b64 v[0:1], v53
	ds_read_b64 v[2:3], v54
	;; [unrolled: 1-line block ×3, first 2 shown]
	s_waitcnt lgkmcnt(4)
	v_sub_f32_e32 v24, v8, v57
	v_sub_f32_e32 v12, v35, v12
	v_fmac_f32_e32 v17, v4, v65
	v_sub_f32_e32 v25, v9, v26
	v_sub_f32_e32 v13, v20, v13
	v_fma_f32 v14, v8, 2.0, -v24
	v_fma_f32 v4, v35, 2.0, -v12
	v_fma_f32 v35, v7, v67, -v15
	v_fma_f32 v26, v9, 2.0, -v25
	s_waitcnt vmcnt(0) lgkmcnt(3)
	v_mul_f32_e32 v9, v10, v70
	v_mul_f32_e32 v34, v11, v70
	v_sub_f32_e32 v7, v14, v4
	v_lshl_add_u32 v4, v45, 3, 0
	v_fma_f32 v8, v20, 2.0, -v13
	v_fma_f32 v57, v11, v69, -v9
	v_add_f32_e32 v11, v24, v13
	v_fma_f32 v9, v14, 2.0, -v7
	ds_read_b64 v[13:14], v4
	v_sub_f32_e32 v12, v25, v12
	s_waitcnt lgkmcnt(1)
	v_sub_f32_e32 v22, v5, v22
	v_sub_f32_e32 v8, v26, v8
	v_fma_f32 v15, v24, 2.0, -v11
	v_sub_f32_e32 v24, v6, v29
	v_sub_f32_e32 v20, v21, v16
	v_fma_f32 v16, v25, 2.0, -v12
	v_fma_f32 v25, v5, 2.0, -v22
	v_sub_f32_e32 v5, v23, v18
	v_fmac_f32_e32 v34, v10, v69
	v_fma_f32 v10, v26, 2.0, -v8
	v_fma_f32 v26, v6, 2.0, -v24
	v_fma_f32 v6, v21, 2.0, -v20
	v_sub_f32_e32 v27, v2, v27
	v_sub_f32_e32 v29, v3, v30
	v_fma_f32 v18, v23, 2.0, -v5
	v_sub_f32_e32 v60, v47, v19
	v_sub_f32_e32 v30, v28, v17
	v_fma_f32 v23, v2, 2.0, -v27
	v_fma_f32 v61, v3, 2.0, -v29
	v_sub_f32_e32 v2, v25, v6
	v_fma_f32 v19, v47, 2.0, -v60
	v_sub_f32_e32 v3, v26, v18
	;; [unrolled: 2-line block ×3, first 2 shown]
	v_sub_f32_e32 v33, v31, v33
	v_sub_f32_e32 v18, v61, v19
	v_fma_f32 v19, v25, 2.0, -v2
	v_fma_f32 v20, v26, 2.0, -v3
	v_add_f32_e32 v25, v27, v60
	s_waitcnt lgkmcnt(0)
	v_sub_f32_e32 v60, v13, v48
	v_sub_f32_e32 v55, v14, v55
	;; [unrolled: 1-line block ×4, first 2 shown]
	v_add_f32_e32 v5, v22, v5
	v_fma_f32 v35, v13, 2.0, -v60
	v_fma_f32 v28, v31, 2.0, -v33
	;; [unrolled: 1-line block ×8, first 2 shown]
	v_sub_f32_e32 v27, v35, v28
	v_sub_f32_e32 v61, v0, v50
	;; [unrolled: 1-line block ×6, first 2 shown]
	v_fma_f32 v57, v0, 2.0, -v61
	v_fma_f32 v59, v1, 2.0, -v62
	;; [unrolled: 1-line block ×5, first 2 shown]
	v_sub_f32_e32 v17, v23, v17
	v_fma_f32 v14, v29, 2.0, -v26
	v_add_f32_e32 v29, v60, v30
	v_sub_f32_e32 v30, v55, v33
	v_sub_f32_e32 v33, v57, v34
	v_sub_f32_e32 v34, v59, v35
	v_add_f32_e32 v47, v61, v47
	v_sub_f32_e32 v48, v62, v48
	v_fma_f32 v23, v23, 2.0, -v17
	v_fma_f32 v1, v31, 2.0, -v28
	;; [unrolled: 1-line block ×8, first 2 shown]
	s_barrier
	buffer_gl0_inv
	ds_write_b64 v51, v[9:10]
	ds_write_b64 v51, v[15:16] offset:8000
	ds_write_b64 v51, v[7:8] offset:16000
	ds_write_b64 v51, v[11:12] offset:24000
	ds_write_b64 v58, v[19:20]
	ds_write_b64 v58, v[21:22] offset:8000
	ds_write_b64 v58, v[2:3] offset:16000
	ds_write_b64 v58, v[5:6] offset:24000
	ds_write_b64 v54, v[23:24]
	ds_write_b64 v54, v[13:14] offset:8000
	ds_write_b64 v54, v[17:18] offset:16000
	ds_write_b64 v54, v[25:26] offset:24000
	ds_write_b64 v4, v[0:1]
	ds_write_b64 v4, v[49:50] offset:8000
	ds_write_b64 v4, v[27:28] offset:16000
	ds_write_b64 v4, v[29:30] offset:24000
	ds_write_b64 v53, v[55:56]
	ds_write_b64 v53, v[59:60] offset:8000
	ds_write_b64 v53, v[33:34] offset:16000
	ds_write_b64 v53, v[47:48] offset:24000
	s_waitcnt lgkmcnt(0)
	s_barrier
	buffer_gl0_inv
	ds_read_b64 v[2:3], v51
	v_sub_nc_u32_e32 v5, 0, v39
                                        ; implicit-def: $vgpr0
                                        ; implicit-def: $vgpr6
                                        ; implicit-def: $vgpr7
	v_cmpx_ne_u32_e32 0, v38
	s_xor_b32 s5, exec_lo, s5
	s_cbranch_execz .LBB0_15
; %bb.14:
	v_mov_b32_e32 v39, v32
	v_lshlrev_b64 v[0:1], 3, v[38:39]
	v_add_co_u32 v0, s0, s1, v0
	v_add_co_ci_u32_e64 v1, s0, s4, v1, s0
	global_load_dwordx2 v[8:9], v[0:1], off
	ds_read_b64 v[0:1], v5 offset:32000
	s_waitcnt lgkmcnt(0)
	v_sub_f32_e32 v6, v2, v0
	v_add_f32_e32 v7, v1, v3
	v_sub_f32_e32 v1, v3, v1
	v_add_f32_e32 v0, v0, v2
	v_mul_f32_e32 v3, 0.5, v6
	v_mul_f32_e32 v2, 0.5, v7
	;; [unrolled: 1-line block ×3, first 2 shown]
	s_waitcnt vmcnt(0)
	v_mul_f32_e32 v7, v9, v3
	v_fma_f32 v10, v2, v9, v1
	v_fma_f32 v1, v2, v9, -v1
	v_fma_f32 v6, 0.5, v0, v7
	v_fma_f32 v0, v0, 0.5, -v7
	v_fma_f32 v7, -v8, v3, v10
	v_fma_f32 v1, -v8, v3, v1
	v_fmac_f32_e32 v6, v8, v2
	v_fma_f32 v0, -v8, v2, v0
                                        ; implicit-def: $vgpr2_vgpr3
.LBB0_15:
	s_or_saveexec_b32 s0, s5
	v_mul_i32_i24_e32 v8, 0xffffffb8, v40
	s_xor_b32 exec_lo, exec_lo, s0
	s_cbranch_execz .LBB0_17
; %bb.16:
	v_mov_b32_e32 v7, 0
	s_waitcnt lgkmcnt(0)
	v_add_f32_e32 v6, v2, v3
	v_sub_f32_e32 v0, v2, v3
	ds_read_b32 v1, v7 offset:16004
	s_waitcnt lgkmcnt(0)
	v_xor_b32_e32 v2, 0x80000000, v1
	v_mov_b32_e32 v1, 0
	ds_write_b32 v7, v2 offset:16004
.LBB0_17:
	s_or_b32 exec_lo, exec_lo, s0
	v_mov_b32_e32 v41, 0
	v_add_nc_u32_e32 v8, v52, v8
	s_waitcnt lgkmcnt(0)
	v_lshlrev_b64 v[2:3], 3, v[40:41]
	v_mov_b32_e32 v47, v41
	v_add_nc_u32_e32 v40, 0x3e8, v38
	v_lshlrev_b64 v[9:10], 3, v[46:47]
	v_add_co_u32 v2, s0, s1, v2
	v_add_co_ci_u32_e64 v3, s0, s4, v3, s0
	v_mov_b32_e32 v46, v41
	v_add_co_u32 v9, s0, s1, v9
	global_load_dwordx2 v[2:3], v[2:3], off
	v_add_co_ci_u32_e64 v10, s0, s4, v10, s0
	v_lshlrev_b64 v[11:12], 3, v[45:46]
	v_mov_b32_e32 v45, v41
	v_lshlrev_b64 v[15:16], 3, v[40:41]
	global_load_dwordx2 v[9:10], v[9:10], off
	v_add_nc_u32_e32 v40, 0x4b0, v38
	v_add_co_u32 v11, s0, s1, v11
	v_add_co_ci_u32_e64 v12, s0, s4, v12, s0
	v_lshlrev_b64 v[13:14], 3, v[44:45]
	v_lshlrev_b64 v[17:18], 3, v[40:41]
	v_add_nc_u32_e32 v40, 0x578, v38
	global_load_dwordx2 v[11:12], v[11:12], off
	v_add_co_u32 v13, s0, s1, v13
	v_add_co_ci_u32_e64 v14, s0, s4, v14, s0
	v_add_co_u32 v15, s0, s1, v15
	v_add_co_ci_u32_e64 v16, s0, s4, v16, s0
	global_load_dwordx2 v[13:14], v[13:14], off
	v_add_co_u32 v17, s0, s1, v17
	global_load_dwordx2 v[15:16], v[15:16], off
	v_add_co_ci_u32_e64 v18, s0, s4, v18, s0
	v_lshlrev_b64 v[19:20], 3, v[40:41]
	v_add_nc_u32_e32 v40, 0x640, v38
	global_load_dwordx2 v[17:18], v[17:18], off
	ds_write2_b32 v51, v6, v7 offset1:1
	ds_write_b64 v5, v[0:1] offset:32000
	v_add_co_u32 v0, s0, s1, v19
	v_add_co_ci_u32_e64 v1, s0, s4, v20, s0
	ds_read_b64 v[6:7], v8
	ds_read_b64 v[19:20], v5 offset:30400
	global_load_dwordx2 v[0:1], v[0:1], off
	s_waitcnt lgkmcnt(0)
	v_sub_f32_e32 v21, v6, v19
	v_add_f32_e32 v22, v7, v20
	v_sub_f32_e32 v7, v7, v20
	v_add_f32_e32 v6, v6, v19
	v_mul_f32_e32 v20, 0.5, v21
	v_mul_f32_e32 v21, 0.5, v22
	;; [unrolled: 1-line block ×3, first 2 shown]
	s_waitcnt vmcnt(6)
	v_mul_f32_e32 v19, v3, v20
	v_fma_f32 v22, v21, v3, v7
	v_fma_f32 v3, v21, v3, -v7
	v_fma_f32 v23, 0.5, v6, v19
	v_fma_f32 v19, v6, 0.5, -v19
	v_lshlrev_b64 v[6:7], 3, v[40:41]
	v_fma_f32 v22, -v2, v20, v22
	v_fma_f32 v20, -v2, v20, v3
	v_fmac_f32_e32 v23, v2, v21
	v_fma_f32 v19, -v2, v21, v19
	ds_write_b32 v8, v22 offset:4
	ds_write_b32 v5, v20 offset:30404
	ds_write_b32 v8, v23
	ds_write_b32 v5, v19 offset:30400
	v_add_co_u32 v2, s0, s1, v6
	v_add_co_ci_u32_e64 v3, s0, s4, v7, s0
	ds_read_b64 v[6:7], v54
	ds_read_b64 v[19:20], v5 offset:28800
	v_add_nc_u32_e32 v40, 0x708, v38
	global_load_dwordx2 v[2:3], v[2:3], off
	s_waitcnt lgkmcnt(0)
	v_add_f32_e32 v21, v7, v20
	v_sub_f32_e32 v7, v7, v20
	v_sub_f32_e32 v8, v6, v19
	v_add_f32_e32 v19, v6, v19
	v_mul_f32_e32 v20, 0.5, v21
	v_mul_f32_e32 v21, 0.5, v7
	v_lshlrev_b64 v[6:7], 3, v[40:41]
	v_mul_f32_e32 v8, 0.5, v8
	s_waitcnt vmcnt(6)
	v_fma_f32 v23, v20, v10, v21
	v_add_co_u32 v6, s0, s1, v6
	v_add_co_ci_u32_e64 v7, s0, s4, v7, s0
	v_mul_f32_e32 v22, v10, v8
	v_fma_f32 v10, v20, v10, -v21
	global_load_dwordx2 v[6:7], v[6:7], off
	v_fma_f32 v21, 0.5, v19, v22
	v_fma_f32 v19, v19, 0.5, -v22
	v_fma_f32 v22, -v9, v8, v23
	v_fma_f32 v10, -v9, v8, v10
	v_fmac_f32_e32 v21, v9, v20
	v_fma_f32 v9, -v9, v20, v19
	ds_write2_b32 v54, v21, v22 offset1:1
	ds_write_b64 v5, v[9:10] offset:28800
	ds_read_b64 v[8:9], v4
	ds_read_b64 v[19:20], v5 offset:27200
	s_waitcnt lgkmcnt(0)
	v_sub_f32_e32 v10, v8, v19
	v_add_f32_e32 v21, v9, v20
	v_sub_f32_e32 v9, v9, v20
	v_add_f32_e32 v8, v8, v19
	v_mul_f32_e32 v10, 0.5, v10
	v_mul_f32_e32 v20, 0.5, v21
	;; [unrolled: 1-line block ×3, first 2 shown]
	s_waitcnt vmcnt(6)
	v_mul_f32_e32 v19, v12, v10
	v_fma_f32 v21, v20, v12, v9
	v_fma_f32 v9, v20, v12, -v9
	v_fma_f32 v12, 0.5, v8, v19
	v_fma_f32 v8, v8, 0.5, -v19
	v_fma_f32 v19, -v11, v10, v21
	v_fma_f32 v9, -v11, v10, v9
	v_fmac_f32_e32 v12, v11, v20
	v_fma_f32 v8, -v11, v20, v8
	ds_write2_b32 v4, v12, v19 offset1:1
	ds_write_b64 v5, v[8:9] offset:27200
	ds_read_b64 v[8:9], v53
	ds_read_b64 v[10:11], v5 offset:25600
	s_waitcnt lgkmcnt(0)
	v_sub_f32_e32 v4, v8, v10
	v_add_f32_e32 v12, v9, v11
	v_sub_f32_e32 v9, v9, v11
	v_add_f32_e32 v8, v8, v10
	v_mul_f32_e32 v4, 0.5, v4
	v_mul_f32_e32 v11, 0.5, v12
	;; [unrolled: 1-line block ×3, first 2 shown]
	s_waitcnt vmcnt(5)
	v_mul_f32_e32 v10, v14, v4
	v_fma_f32 v12, v11, v14, v9
	v_fma_f32 v9, v11, v14, -v9
	v_fma_f32 v14, 0.5, v8, v10
	v_fma_f32 v8, v8, 0.5, -v10
	v_fma_f32 v10, -v13, v4, v12
	v_fma_f32 v9, -v13, v4, v9
	v_fmac_f32_e32 v14, v13, v11
	v_fma_f32 v8, -v13, v11, v8
	ds_write2_b32 v53, v14, v10 offset1:1
	ds_write_b64 v5, v[8:9] offset:25600
	ds_read_b64 v[8:9], v51 offset:8000
	ds_read_b64 v[10:11], v5 offset:24000
	s_waitcnt lgkmcnt(0)
	v_sub_f32_e32 v4, v8, v10
	v_add_f32_e32 v12, v9, v11
	v_sub_f32_e32 v9, v9, v11
	v_add_f32_e32 v8, v8, v10
	v_mul_f32_e32 v4, 0.5, v4
	v_mul_f32_e32 v11, 0.5, v12
	v_mul_f32_e32 v9, 0.5, v9
	s_waitcnt vmcnt(4)
	v_mul_f32_e32 v10, v16, v4
	v_fma_f32 v12, v11, v16, v9
	v_fma_f32 v9, v11, v16, -v9
	v_fma_f32 v13, 0.5, v8, v10
	v_fma_f32 v8, v8, 0.5, -v10
	v_add_nc_u32_e32 v10, 0x1c00, v51
	v_fma_f32 v12, -v15, v4, v12
	v_fma_f32 v9, -v15, v4, v9
	v_fmac_f32_e32 v13, v15, v11
	v_fma_f32 v8, -v15, v11, v8
	ds_write2_b32 v10, v13, v12 offset0:208 offset1:209
	ds_write_b64 v5, v[8:9] offset:24000
	ds_read_b64 v[8:9], v51 offset:9600
	ds_read_b64 v[10:11], v5 offset:22400
	s_waitcnt lgkmcnt(0)
	v_sub_f32_e32 v4, v8, v10
	v_add_f32_e32 v12, v9, v11
	v_sub_f32_e32 v9, v9, v11
	v_add_f32_e32 v8, v8, v10
	v_mul_f32_e32 v4, 0.5, v4
	v_mul_f32_e32 v11, 0.5, v12
	v_mul_f32_e32 v9, 0.5, v9
	s_waitcnt vmcnt(3)
	v_mul_f32_e32 v10, v18, v4
	v_fma_f32 v12, v11, v18, v9
	v_fma_f32 v9, v11, v18, -v9
	v_fma_f32 v13, 0.5, v8, v10
	v_fma_f32 v8, v8, 0.5, -v10
	v_add_nc_u32_e32 v10, 0x2400, v51
	v_fma_f32 v12, -v17, v4, v12
	v_fma_f32 v9, -v17, v4, v9
	v_fmac_f32_e32 v13, v17, v11
	v_fma_f32 v8, -v17, v11, v8
	ds_write2_b32 v10, v13, v12 offset0:96 offset1:97
	;; [unrolled: 23-line block ×5, first 2 shown]
	ds_write_b64 v5, v[0:1] offset:17600
	s_waitcnt lgkmcnt(0)
	s_barrier
	buffer_gl0_inv
	s_and_saveexec_b32 s0, vcc_lo
	s_cbranch_execz .LBB0_20
; %bb.18:
	v_mul_lo_u32 v2, s3, v42
	v_mul_lo_u32 v3, s2, v43
	v_mad_u64_u32 v[0:1], null, s2, v42, 0
	v_lshl_add_u32 v24, v38, 3, 0
	v_mov_b32_e32 v39, v41
	v_lshlrev_b64 v[6:7], 3, v[36:37]
	v_add_nc_u32_e32 v40, 0xc8, v38
	v_add_nc_u32_e32 v18, 0x3200, v24
	v_add3_u32 v1, v1, v3, v2
	ds_read2_b64 v[2:5], v24 offset1:200
	v_lshlrev_b64 v[8:9], 3, v[38:39]
	v_lshlrev_b64 v[10:11], 3, v[40:41]
	v_add_nc_u32_e32 v40, 0x190, v38
	v_lshlrev_b64 v[0:1], 3, v[0:1]
	v_lshlrev_b64 v[14:15], 3, v[40:41]
	v_add_nc_u32_e32 v40, 0x258, v38
	v_add_co_u32 v0, vcc_lo, s10, v0
	v_add_co_ci_u32_e32 v1, vcc_lo, s11, v1, vcc_lo
	v_add_co_u32 v0, vcc_lo, v0, v6
	v_add_co_ci_u32_e32 v1, vcc_lo, v1, v7, vcc_lo
	v_add_nc_u32_e32 v6, 0xc00, v24
	v_add_co_u32 v12, vcc_lo, v0, v8
	v_add_co_ci_u32_e32 v13, vcc_lo, v1, v9, vcc_lo
	ds_read2_b64 v[6:9], v6 offset0:16 offset1:216
	v_add_co_u32 v10, vcc_lo, v0, v10
	v_add_co_ci_u32_e32 v11, vcc_lo, v1, v11, vcc_lo
	s_waitcnt lgkmcnt(1)
	global_store_dwordx2 v[12:13], v[2:3], off
	global_store_dwordx2 v[10:11], v[4:5], off
	v_lshlrev_b64 v[2:3], 3, v[40:41]
	v_add_co_u32 v4, vcc_lo, v0, v14
	v_add_co_ci_u32_e32 v5, vcc_lo, v1, v15, vcc_lo
	v_add_nc_u32_e32 v40, 0x320, v38
	v_add_co_u32 v2, vcc_lo, v0, v2
	v_add_co_ci_u32_e32 v3, vcc_lo, v1, v3, vcc_lo
	v_add_nc_u32_e32 v12, 0x1800, v24
	v_lshlrev_b64 v[10:11], 3, v[40:41]
	s_waitcnt lgkmcnt(0)
	global_store_dwordx2 v[4:5], v[6:7], off
	v_add_nc_u32_e32 v6, 0x2400, v24
	v_add_nc_u32_e32 v40, 0x3e8, v38
	global_store_dwordx2 v[2:3], v[8:9], off
	ds_read2_b64 v[2:5], v12 offset0:32 offset1:232
	v_add_co_u32 v10, vcc_lo, v0, v10
	ds_read2_b64 v[6:9], v6 offset0:48 offset1:248
	v_lshlrev_b64 v[12:13], 3, v[40:41]
	v_add_nc_u32_e32 v40, 0x4b0, v38
	v_add_co_ci_u32_e32 v11, vcc_lo, v1, v11, vcc_lo
	v_lshlrev_b64 v[14:15], 3, v[40:41]
	v_add_co_u32 v12, vcc_lo, v0, v12
	v_add_co_ci_u32_e32 v13, vcc_lo, v1, v13, vcc_lo
	v_add_nc_u32_e32 v40, 0x578, v38
	v_add_co_u32 v14, vcc_lo, v0, v14
	v_add_co_ci_u32_e32 v15, vcc_lo, v1, v15, vcc_lo
	v_lshlrev_b64 v[16:17], 3, v[40:41]
	v_add_nc_u32_e32 v40, 0x640, v38
	s_waitcnt lgkmcnt(1)
	global_store_dwordx2 v[10:11], v[2:3], off
	global_store_dwordx2 v[12:13], v[4:5], off
	s_waitcnt lgkmcnt(0)
	global_store_dwordx2 v[14:15], v[6:7], off
	ds_read2_b64 v[2:5], v18 offset1:200
	v_lshlrev_b64 v[6:7], 3, v[40:41]
	v_add_nc_u32_e32 v40, 0x708, v38
	v_add_co_u32 v10, vcc_lo, v0, v16
	v_add_co_ci_u32_e32 v11, vcc_lo, v1, v17, vcc_lo
	v_lshlrev_b64 v[12:13], 3, v[40:41]
	v_add_nc_u32_e32 v40, 0x7d0, v38
	v_add_co_u32 v6, vcc_lo, v0, v6
	v_add_co_ci_u32_e32 v7, vcc_lo, v1, v7, vcc_lo
	v_add_co_u32 v12, vcc_lo, v0, v12
	v_lshlrev_b64 v[14:15], 3, v[40:41]
	v_add_nc_u32_e32 v40, 0x898, v38
	v_add_co_ci_u32_e32 v13, vcc_lo, v1, v13, vcc_lo
	global_store_dwordx2 v[10:11], v[8:9], off
	s_waitcnt lgkmcnt(0)
	global_store_dwordx2 v[6:7], v[2:3], off
	global_store_dwordx2 v[12:13], v[4:5], off
	v_lshlrev_b64 v[10:11], 3, v[40:41]
	v_add_nc_u32_e32 v40, 0x960, v38
	v_add_nc_u32_e32 v16, 0x3e00, v24
	;; [unrolled: 1-line block ×3, first 2 shown]
	v_add_co_u32 v14, vcc_lo, v0, v14
	v_lshlrev_b64 v[12:13], 3, v[40:41]
	v_add_nc_u32_e32 v40, 0xa28, v38
	v_add_co_ci_u32_e32 v15, vcc_lo, v1, v15, vcc_lo
	ds_read2_b64 v[2:5], v16 offset0:16 offset1:216
	v_add_co_u32 v16, vcc_lo, v0, v10
	ds_read2_b64 v[6:9], v6 offset0:32 offset1:232
	v_add_co_ci_u32_e32 v17, vcc_lo, v1, v11, vcc_lo
	v_lshlrev_b64 v[10:11], 3, v[40:41]
	v_add_co_u32 v18, vcc_lo, v0, v12
	v_add_nc_u32_e32 v12, 0x5600, v24
	v_add_co_ci_u32_e32 v19, vcc_lo, v1, v13, vcc_lo
	v_add_co_u32 v20, vcc_lo, v0, v10
	v_add_nc_u32_e32 v40, 0xaf0, v38
	v_add_co_ci_u32_e32 v21, vcc_lo, v1, v11, vcc_lo
	ds_read2_b64 v[10:13], v12 offset0:48 offset1:248
	s_waitcnt lgkmcnt(2)
	global_store_dwordx2 v[14:15], v[2:3], off
	global_store_dwordx2 v[16:17], v[4:5], off
	s_waitcnt lgkmcnt(1)
	global_store_dwordx2 v[18:19], v[6:7], off
	global_store_dwordx2 v[20:21], v[8:9], off
	v_lshlrev_b64 v[22:23], 3, v[40:41]
	v_add_nc_u32_e32 v40, 0xbb8, v38
	v_add_nc_u32_e32 v6, 0x6400, v24
	;; [unrolled: 1-line block ×3, first 2 shown]
	v_lshlrev_b64 v[2:3], 3, v[40:41]
	v_add_nc_u32_e32 v40, 0xc80, v38
	v_add_co_u32 v4, vcc_lo, v0, v22
	v_add_co_ci_u32_e32 v5, vcc_lo, v1, v23, vcc_lo
	v_lshlrev_b64 v[14:15], 3, v[40:41]
	v_add_nc_u32_e32 v40, 0xd48, v38
	v_add_co_u32 v2, vcc_lo, v0, v2
	v_add_co_ci_u32_e32 v3, vcc_lo, v1, v3, vcc_lo
	s_waitcnt lgkmcnt(0)
	global_store_dwordx2 v[4:5], v[10:11], off
	v_lshlrev_b64 v[10:11], 3, v[40:41]
	v_add_nc_u32_e32 v40, 0xe10, v38
	global_store_dwordx2 v[2:3], v[12:13], off
	v_add_co_u32 v12, vcc_lo, v0, v14
	ds_read2_b64 v[2:5], v6 offset1:200
	v_add_co_ci_u32_e32 v13, vcc_lo, v1, v15, vcc_lo
	v_lshlrev_b64 v[14:15], 3, v[40:41]
	v_add_nc_u32_e32 v40, 0xed8, v38
	ds_read2_b64 v[6:9], v7 offset0:16 offset1:216
	v_add_co_u32 v10, vcc_lo, v0, v10
	v_add_co_ci_u32_e32 v11, vcc_lo, v1, v11, vcc_lo
	v_lshlrev_b64 v[16:17], 3, v[40:41]
	v_add_co_u32 v14, vcc_lo, v0, v14
	v_add_co_ci_u32_e32 v15, vcc_lo, v1, v15, vcc_lo
	v_add_co_u32 v16, vcc_lo, v0, v16
	v_add_co_ci_u32_e32 v17, vcc_lo, v1, v17, vcc_lo
	v_cmp_eq_u32_e32 vcc_lo, 0xc7, v38
	s_waitcnt lgkmcnt(1)
	global_store_dwordx2 v[12:13], v[2:3], off
	global_store_dwordx2 v[10:11], v[4:5], off
	s_waitcnt lgkmcnt(0)
	global_store_dwordx2 v[14:15], v[6:7], off
	global_store_dwordx2 v[16:17], v[8:9], off
	s_and_b32 exec_lo, exec_lo, vcc_lo
	s_cbranch_execz .LBB0_20
; %bb.19:
	v_mov_b32_e32 v2, 0
	v_add_co_u32 v0, vcc_lo, 0x7800, v0
	v_add_co_ci_u32_e32 v1, vcc_lo, 0, v1, vcc_lo
	ds_read_b64 v[2:3], v2 offset:32000
	s_waitcnt lgkmcnt(0)
	global_store_dwordx2 v[0:1], v[2:3], off offset:1280
.LBB0_20:
	s_endpgm
	.section	.rodata,"a",@progbits
	.p2align	6, 0x0
	.amdhsa_kernel fft_rtc_back_len4000_factors_10_10_10_4_wgs_200_tpt_200_halfLds_sp_op_CI_CI_unitstride_sbrr_R2C_dirReg
		.amdhsa_group_segment_fixed_size 0
		.amdhsa_private_segment_fixed_size 0
		.amdhsa_kernarg_size 104
		.amdhsa_user_sgpr_count 6
		.amdhsa_user_sgpr_private_segment_buffer 1
		.amdhsa_user_sgpr_dispatch_ptr 0
		.amdhsa_user_sgpr_queue_ptr 0
		.amdhsa_user_sgpr_kernarg_segment_ptr 1
		.amdhsa_user_sgpr_dispatch_id 0
		.amdhsa_user_sgpr_flat_scratch_init 0
		.amdhsa_user_sgpr_private_segment_size 0
		.amdhsa_wavefront_size32 1
		.amdhsa_uses_dynamic_stack 0
		.amdhsa_system_sgpr_private_segment_wavefront_offset 0
		.amdhsa_system_sgpr_workgroup_id_x 1
		.amdhsa_system_sgpr_workgroup_id_y 0
		.amdhsa_system_sgpr_workgroup_id_z 0
		.amdhsa_system_sgpr_workgroup_info 0
		.amdhsa_system_vgpr_workitem_id 0
		.amdhsa_next_free_vgpr 97
		.amdhsa_next_free_sgpr 27
		.amdhsa_reserve_vcc 1
		.amdhsa_reserve_flat_scratch 0
		.amdhsa_float_round_mode_32 0
		.amdhsa_float_round_mode_16_64 0
		.amdhsa_float_denorm_mode_32 3
		.amdhsa_float_denorm_mode_16_64 3
		.amdhsa_dx10_clamp 1
		.amdhsa_ieee_mode 1
		.amdhsa_fp16_overflow 0
		.amdhsa_workgroup_processor_mode 1
		.amdhsa_memory_ordered 1
		.amdhsa_forward_progress 0
		.amdhsa_shared_vgpr_count 0
		.amdhsa_exception_fp_ieee_invalid_op 0
		.amdhsa_exception_fp_denorm_src 0
		.amdhsa_exception_fp_ieee_div_zero 0
		.amdhsa_exception_fp_ieee_overflow 0
		.amdhsa_exception_fp_ieee_underflow 0
		.amdhsa_exception_fp_ieee_inexact 0
		.amdhsa_exception_int_div_zero 0
	.end_amdhsa_kernel
	.text
.Lfunc_end0:
	.size	fft_rtc_back_len4000_factors_10_10_10_4_wgs_200_tpt_200_halfLds_sp_op_CI_CI_unitstride_sbrr_R2C_dirReg, .Lfunc_end0-fft_rtc_back_len4000_factors_10_10_10_4_wgs_200_tpt_200_halfLds_sp_op_CI_CI_unitstride_sbrr_R2C_dirReg
                                        ; -- End function
	.section	.AMDGPU.csdata,"",@progbits
; Kernel info:
; codeLenInByte = 14056
; NumSgprs: 29
; NumVgprs: 97
; ScratchSize: 0
; MemoryBound: 0
; FloatMode: 240
; IeeeMode: 1
; LDSByteSize: 0 bytes/workgroup (compile time only)
; SGPRBlocks: 3
; VGPRBlocks: 12
; NumSGPRsForWavesPerEU: 29
; NumVGPRsForWavesPerEU: 97
; Occupancy: 9
; WaveLimiterHint : 1
; COMPUTE_PGM_RSRC2:SCRATCH_EN: 0
; COMPUTE_PGM_RSRC2:USER_SGPR: 6
; COMPUTE_PGM_RSRC2:TRAP_HANDLER: 0
; COMPUTE_PGM_RSRC2:TGID_X_EN: 1
; COMPUTE_PGM_RSRC2:TGID_Y_EN: 0
; COMPUTE_PGM_RSRC2:TGID_Z_EN: 0
; COMPUTE_PGM_RSRC2:TIDIG_COMP_CNT: 0
	.text
	.p2alignl 6, 3214868480
	.fill 48, 4, 3214868480
	.type	__hip_cuid_9b1d3a3a3814cdb1,@object ; @__hip_cuid_9b1d3a3a3814cdb1
	.section	.bss,"aw",@nobits
	.globl	__hip_cuid_9b1d3a3a3814cdb1
__hip_cuid_9b1d3a3a3814cdb1:
	.byte	0                               ; 0x0
	.size	__hip_cuid_9b1d3a3a3814cdb1, 1

	.ident	"AMD clang version 19.0.0git (https://github.com/RadeonOpenCompute/llvm-project roc-6.4.0 25133 c7fe45cf4b819c5991fe208aaa96edf142730f1d)"
	.section	".note.GNU-stack","",@progbits
	.addrsig
	.addrsig_sym __hip_cuid_9b1d3a3a3814cdb1
	.amdgpu_metadata
---
amdhsa.kernels:
  - .args:
      - .actual_access:  read_only
        .address_space:  global
        .offset:         0
        .size:           8
        .value_kind:     global_buffer
      - .offset:         8
        .size:           8
        .value_kind:     by_value
      - .actual_access:  read_only
        .address_space:  global
        .offset:         16
        .size:           8
        .value_kind:     global_buffer
      - .actual_access:  read_only
        .address_space:  global
        .offset:         24
        .size:           8
        .value_kind:     global_buffer
      - .actual_access:  read_only
        .address_space:  global
        .offset:         32
        .size:           8
        .value_kind:     global_buffer
      - .offset:         40
        .size:           8
        .value_kind:     by_value
      - .actual_access:  read_only
        .address_space:  global
        .offset:         48
        .size:           8
        .value_kind:     global_buffer
      - .actual_access:  read_only
        .address_space:  global
        .offset:         56
        .size:           8
        .value_kind:     global_buffer
      - .offset:         64
        .size:           4
        .value_kind:     by_value
      - .actual_access:  read_only
        .address_space:  global
        .offset:         72
        .size:           8
        .value_kind:     global_buffer
      - .actual_access:  read_only
        .address_space:  global
        .offset:         80
        .size:           8
        .value_kind:     global_buffer
      - .actual_access:  read_only
        .address_space:  global
        .offset:         88
        .size:           8
        .value_kind:     global_buffer
      - .actual_access:  write_only
        .address_space:  global
        .offset:         96
        .size:           8
        .value_kind:     global_buffer
    .group_segment_fixed_size: 0
    .kernarg_segment_align: 8
    .kernarg_segment_size: 104
    .language:       OpenCL C
    .language_version:
      - 2
      - 0
    .max_flat_workgroup_size: 200
    .name:           fft_rtc_back_len4000_factors_10_10_10_4_wgs_200_tpt_200_halfLds_sp_op_CI_CI_unitstride_sbrr_R2C_dirReg
    .private_segment_fixed_size: 0
    .sgpr_count:     29
    .sgpr_spill_count: 0
    .symbol:         fft_rtc_back_len4000_factors_10_10_10_4_wgs_200_tpt_200_halfLds_sp_op_CI_CI_unitstride_sbrr_R2C_dirReg.kd
    .uniform_work_group_size: 1
    .uses_dynamic_stack: false
    .vgpr_count:     97
    .vgpr_spill_count: 0
    .wavefront_size: 32
    .workgroup_processor_mode: 1
amdhsa.target:   amdgcn-amd-amdhsa--gfx1030
amdhsa.version:
  - 1
  - 2
...

	.end_amdgpu_metadata
